;; amdgpu-corpus repo=ROCm/Tensile kind=harvested arch=n/a opt=n/a

/******************************************/
/* Function Prefix                        */
/******************************************/



/******************************************/
/* Begin Kernel                           */
/******************************************/

// Component.Signature.SignatureDefault
.amdgcn_target "amdgcn-amd-amdhsa--gfx90a"
.text
.protected Cijk_Ailk_Bljk_HHS_BHRZ_MT160x128x32_MI32x32x8x1_SN_1LDSB0_APM1_ABV0_ACED0_AF0EM1_AF1EM1_AMAS0_ASE_ASGT_ASLT_ASEM1_AAC0_BL1_BS1_CLR0_DTVA0_DVO0_ETSP_EPS0_EMLL0_FL0_GLVWA4_GLVWB4_GRPM1_GRVW4_GSU3_GSUAMB_GLS0_ISA90a_IU1_K1_KLA_LBSPPA0_LBSPPB128_LPA0_LPB8_LDL1_LRVW8_LWPMn1_LDW0_FMA_MIAV0_MO1_MMFGLC_NTA0_NTB0_NTC0_NTD0_NEPBS0_NLCA5_NLCB1_ONLL1_OPLV0_PK0_PAP0_PGR2_PLR5_SIA3_SS1_SU4_SUM0_SUS256_SCIUI1_SPO0_SRVW0_SSO0_SVW1_SNLL0_TSGRA0_TSGRB0_TT5_32_TLDS1_UMLDSA0_UMLDSB1_USFGROn1_VAW1_VSn1_VW1_VWB1_VFLRP0_WSGRA0_WSGRB1_WG32_8_1_WGM8
.globl Cijk_Ailk_Bljk_HHS_BHRZ_MT160x128x32_MI32x32x8x1_SN_1LDSB0_APM1_ABV0_ACED0_AF0EM1_AF1EM1_AMAS0_ASE_ASGT_ASLT_ASEM1_AAC0_BL1_BS1_CLR0_DTVA0_DVO0_ETSP_EPS0_EMLL0_FL0_GLVWA4_GLVWB4_GRPM1_GRVW4_GSU3_GSUAMB_GLS0_ISA90a_IU1_K1_KLA_LBSPPA0_LBSPPB128_LPA0_LPB8_LDL1_LRVW8_LWPMn1_LDW0_FMA_MIAV0_MO1_MMFGLC_NTA0_NTB0_NTC0_NTD0_NEPBS0_NLCA5_NLCB1_ONLL1_OPLV0_PK0_PAP0_PGR2_PLR5_SIA3_SS1_SU4_SUM0_SUS256_SCIUI1_SPO0_SRVW0_SSO0_SVW1_SNLL0_TSGRA0_TSGRB0_TT5_32_TLDS1_UMLDSA0_UMLDSB1_USFGROn1_VAW1_VSn1_VW1_VWB1_VFLRP0_WSGRA0_WSGRB1_WG32_8_1_WGM8
.p2align 8
.type Cijk_Ailk_Bljk_HHS_BHRZ_MT160x128x32_MI32x32x8x1_SN_1LDSB0_APM1_ABV0_ACED0_AF0EM1_AF1EM1_AMAS0_ASE_ASGT_ASLT_ASEM1_AAC0_BL1_BS1_CLR0_DTVA0_DVO0_ETSP_EPS0_EMLL0_FL0_GLVWA4_GLVWB4_GRPM1_GRVW4_GSU3_GSUAMB_GLS0_ISA90a_IU1_K1_KLA_LBSPPA0_LBSPPB128_LPA0_LPB8_LDL1_LRVW8_LWPMn1_LDW0_FMA_MIAV0_MO1_MMFGLC_NTA0_NTB0_NTC0_NTD0_NEPBS0_NLCA5_NLCB1_ONLL1_OPLV0_PK0_PAP0_PGR2_PLR5_SIA3_SS1_SU4_SUM0_SUS256_SCIUI1_SPO0_SRVW0_SSO0_SVW1_SNLL0_TSGRA0_TSGRB0_TT5_32_TLDS1_UMLDSA0_UMLDSB1_USFGROn1_VAW1_VSn1_VW1_VWB1_VFLRP0_WSGRA0_WSGRB1_WG32_8_1_WGM8,@function
.section .rodata,#alloc
.p2align 6
.amdhsa_kernel Cijk_Ailk_Bljk_HHS_BHRZ_MT160x128x32_MI32x32x8x1_SN_1LDSB0_APM1_ABV0_ACED0_AF0EM1_AF1EM1_AMAS0_ASE_ASGT_ASLT_ASEM1_AAC0_BL1_BS1_CLR0_DTVA0_DVO0_ETSP_EPS0_EMLL0_FL0_GLVWA4_GLVWB4_GRPM1_GRVW4_GSU3_GSUAMB_GLS0_ISA90a_IU1_K1_KLA_LBSPPA0_LBSPPB128_LPA0_LPB8_LDL1_LRVW8_LWPMn1_LDW0_FMA_MIAV0_MO1_MMFGLC_NTA0_NTB0_NTC0_NTD0_NEPBS0_NLCA5_NLCB1_ONLL1_OPLV0_PK0_PAP0_PGR2_PLR5_SIA3_SS1_SU4_SUM0_SUS256_SCIUI1_SPO0_SRVW0_SSO0_SVW1_SNLL0_TSGRA0_TSGRB0_TT5_32_TLDS1_UMLDSA0_UMLDSB1_USFGROn1_VAW1_VSn1_VW1_VWB1_VFLRP0_WSGRA0_WSGRB1_WG32_8_1_WGM8
  .amdhsa_user_sgpr_kernarg_segment_ptr 1
  .amdhsa_user_sgpr_kernarg_preload_offset 0
  .amdhsa_user_sgpr_kernarg_preload_length 0
  .amdhsa_user_sgpr_count 2
  .amdhsa_accum_offset 256 // accvgpr offset
  .amdhsa_next_free_vgpr 336 // vgprs
  .amdhsa_next_free_sgpr 70 // sgprs
  .amdhsa_group_segment_fixed_size 65536 // lds bytes
  .amdhsa_private_segment_fixed_size 0
  .amdhsa_system_sgpr_workgroup_id_x 1
  .amdhsa_system_sgpr_workgroup_id_y 1
  .amdhsa_system_sgpr_workgroup_id_z 1
  .amdhsa_system_vgpr_workitem_id 0
  .amdhsa_float_denorm_mode_32 3
  .amdhsa_float_denorm_mode_16_64 3
.end_amdhsa_kernel
.text

/******************************************/
/* Optimizations and Config:              */
/******************************************/
/* ThreadTile= 80 x 1 */
/* SubGroup= 2 x 128 */
/* VectorWidthA=1 */
/* VectorWidthB=1 */
/* GlobalLoadVectorWidthA=4, GlobalLoadVectorWidthB=4 */
/* DirectToLdsA=False */
/* DirectToLdsB=False */
/* UseSgprForGRO=False */
.amdgpu_metadata
---
amdhsa.version:
  - 1
  - 1
amdhsa.target: amdgcn-amd-amdhsa--gfx90a
amdhsa.kernels:
  - .name: Cijk_Ailk_Bljk_HHS_BHRZ_MT160x128x32_MI32x32x8x1_SN_1LDSB0_APM1_ABV0_ACED0_AF0EM1_AF1EM1_AMAS0_ASE_ASGT_ASLT_ASEM1_AAC0_BL1_BS1_CLR0_DTVA0_DVO0_ETSP_EPS0_EMLL0_FL0_GLVWA4_GLVWB4_GRPM1_GRVW4_GSU3_GSUAMB_GLS0_ISA90a_IU1_K1_KLA_LBSPPA0_LBSPPB128_LPA0_LPB8_LDL1_LRVW8_LWPMn1_LDW0_FMA_MIAV0_MO1_MMFGLC_NTA0_NTB0_NTC0_NTD0_NEPBS0_NLCA5_NLCB1_ONLL1_OPLV0_PK0_PAP0_PGR2_PLR5_SIA3_SS1_SU4_SUM0_SUS256_SCIUI1_SPO0_SRVW0_SSO0_SVW1_SNLL0_TSGRA0_TSGRB0_TT5_32_TLDS1_UMLDSA0_UMLDSB1_USFGROn1_VAW1_VSn1_VW1_VWB1_VFLRP0_WSGRA0_WSGRB1_WG32_8_1_WGM8
    .symbol: 'Cijk_Ailk_Bljk_HHS_BHRZ_MT160x128x32_MI32x32x8x1_SN_1LDSB0_APM1_ABV0_ACED0_AF0EM1_AF1EM1_AMAS0_ASE_ASGT_ASLT_ASEM1_AAC0_BL1_BS1_CLR0_DTVA0_DVO0_ETSP_EPS0_EMLL0_FL0_GLVWA4_GLVWB4_GRPM1_GRVW4_GSU3_GSUAMB_GLS0_ISA90a_IU1_K1_KLA_LBSPPA0_LBSPPB128_LPA0_LPB8_LDL1_LRVW8_LWPMn1_LDW0_FMA_MIAV0_MO1_MMFGLC_NTA0_NTB0_NTC0_NTD0_NEPBS0_NLCA5_NLCB1_ONLL1_OPLV0_PK0_PAP0_PGR2_PLR5_SIA3_SS1_SU4_SUM0_SUS256_SCIUI1_SPO0_SRVW0_SSO0_SVW1_SNLL0_TSGRA0_TSGRB0_TT5_32_TLDS1_UMLDSA0_UMLDSB1_USFGROn1_VAW1_VSn1_VW1_VWB1_VFLRP0_WSGRA0_WSGRB1_WG32_8_1_WGM8.kd'
    .language:                   OpenCL C
    .language_version:
      - 2
      - 0
    .args:
      - .name:            Tensor2dSizeA
        .size:            8
        .offset:          0
        .value_kind:      by_value
        .value_type:      u64
      - .name:            Tensor2dSizeB
        .size:            8
        .offset:          8
        .value_kind:      by_value
        .value_type:      u64
      - .name:            AddressD
        .size:            8
        .offset:          16
        .value_kind:      by_value
        .value_type:      u64
      - .name:            AddressC
        .size:            8
        .offset:          24
        .value_kind:      by_value
        .value_type:      u64
      - .name:            AddressA
        .size:            8
        .offset:          32
        .value_kind:      by_value
        .value_type:      u64
      - .name:            AddressB
        .size:            8
        .offset:          40
        .value_kind:      by_value
        .value_type:      u64
      - .name:            Alpha
        .size:            4
        .offset:          48
        .value_kind:      by_value
        .value_type:      u32
      - .name:            Beta
        .size:            4
        .offset:          52
        .value_kind:      by_value
        .value_type:      u32
      - .name:            StridesD
        .size:            8
        .offset:          56
        .value_kind:      by_value
        .value_type:      u64
      - .name:            StridesC
        .size:            8
        .offset:          64
        .value_kind:      by_value
        .value_type:      u64
      - .name:            StridesA
        .size:            8
        .offset:          72
        .value_kind:      by_value
        .value_type:      u64
      - .name:            StridesB
        .size:            8
        .offset:          80
        .value_kind:      by_value
        .value_type:      u64
      - .name:            SizesFree
        .size:            12
        .offset:          88
        .value_kind:      by_value
        .value_type:      u96
      - .name:            SizesSum
        .size:            4
        .offset:          100
        .value_kind:      by_value
        .value_type:      u32
      - .name:            OrigStaggerUIter
        .size:            4
        .offset:          104
        .value_kind:      by_value
        .value_type:      u32
      - .name:            NumWorkGroups0
        .size:            4
        .offset:          108
        .value_kind:      by_value
        .value_type:      u32
      - .name:            NumWorkGroups1
        .size:            4
        .offset:          112
        .value_kind:      by_value
        .value_type:      u32
      - .name:            NumFullBlocks
        .size:            4
        .offset:          116
        .value_kind:      by_value
        .value_type:      u32
      - .name:            WgmRemainder1
        .size:            4
        .offset:          120
        .value_kind:      by_value
        .value_type:      u32
      - .name:            MagicNumberWgmRemainder1
        .size:            4
        .offset:          124
        .value_kind:      by_value
        .value_type:      u32
    .group_segment_fixed_size:   65536
    .kernarg_segment_align:      8
    .kernarg_segment_size:       128
    .max_flat_workgroup_size:    256
    .private_segment_fixed_size: 0
    .sgpr_count:                 70
    .sgpr_spill_count:           0
    .vgpr_count:                 256
    .vgpr_spill_count:           0
    .wavefront_size:             64
...
.end_amdgpu_metadata
Cijk_Ailk_Bljk_HHS_BHRZ_MT160x128x32_MI32x32x8x1_SN_1LDSB0_APM1_ABV0_ACED0_AF0EM1_AF1EM1_AMAS0_ASE_ASGT_ASLT_ASEM1_AAC0_BL1_BS1_CLR0_DTVA0_DVO0_ETSP_EPS0_EMLL0_FL0_GLVWA4_GLVWB4_GRPM1_GRVW4_GSU3_GSUAMB_GLS0_ISA90a_IU1_K1_KLA_LBSPPA0_LBSPPB128_LPA0_LPB8_LDL1_LRVW8_LWPMn1_LDW0_FMA_MIAV0_MO1_MMFGLC_NTA0_NTB0_NTC0_NTD0_NEPBS0_NLCA5_NLCB1_ONLL1_OPLV0_PK0_PAP0_PGR2_PLR5_SIA3_SS1_SU4_SUM0_SUS256_SCIUI1_SPO0_SRVW0_SSO0_SVW1_SNLL0_TSGRA0_TSGRB0_TT5_32_TLDS1_UMLDSA0_UMLDSB1_USFGROn1_VAW1_VSn1_VW1_VWB1_VFLRP0_WSGRA0_WSGRB1_WG32_8_1_WGM8:

/******************************************/
/* Asm syntax workarounds                 */
/******************************************/
.macro _v_add_co_u32 dst:req, cc:req, src0:req, src1:req, dpp=
   v_add_co_u32 \dst, \cc, \src0, \src1 \dpp
.endm

.macro _v_add_u32 dst:req, src0:req, src1:req, dpp=
   v_add_u32 \dst, \src0, \src1 \dpp
.endm

.macro _v_add_i32 dst:req, src0:req, src1:req, dpp=
   v_add_i32 \dst, \src0, \src1 \dpp
.endm

.macro _v_addc_co_u32 dst:req, ccOut:req, src0:req, ccIn:req, src1:req, dpp=
   v_addc_co_u32 \dst, \ccOut, \src0, \ccIn, \src1 \dpp
.endm

.macro _v_sub_co_u32 dst:req, cc:req, src0:req, src1:req, dpp=
   v_sub_co_u32 \dst, \cc, \src0, \src1 \dpp
.endm

.macro _v_sub_u32 dst:req, src0:req, src1:req, dpp=
   v_sub_u32 \dst, \src0, \src1 \dpp
.endm

.macro _v_sub_i32 dst:req, src0:req, src1:req, dpp=
   v_sub_i32 \dst, \src0, \src1 \dpp
.endm

.macro _v_add_lshl_u32 dst:req, src0:req, src1:req, shiftCnt:req
    v_add_lshl_u32 \dst, \src0, \src1, \shiftCnt
.endm

.macro _v_lshl_add_u32 dst:req, src0:req, src1:req, shiftCnt:req
    v_lshl_add_u32 \dst, \src0, \src1, \shiftCnt
.endm

.macro _v_lshl_or_b32 dst:req, src0:req, shiftCnt:req, src1:req
    v_lshl_or_b32 \dst, \src0, \shiftCnt, \src1
.endm

.macro _v_dot2acc_f32_f16 dst, src0, src1
v_dot2c_f32_f16 \dst, \src0, \src1
.endm

.macro _v_cmpx_lt_i16 dst, src0, src1=
   v_cmpx_lt_i16 \dst, \src0, \src1 
.endm

.macro _v_cmpx_lt_i32 dst, src0, src1=
   v_cmpx_lt_i32 \dst, \src0, \src1 
.endm

.macro _v_cmpx_lt_i64 dst, src0, src1=
   v_cmpx_lt_i64 \dst, \src0, \src1 
.endm

.macro _v_cmpx_lt_u16 dst, src0, src1=
   v_cmpx_lt_u16 \dst, \src0, \src1 
.endm

.macro _v_cmpx_lt_u32 dst, src0, src1=
   v_cmpx_lt_u32 \dst, \src0, \src1 
.endm

.macro _v_cmpx_lt_u64 dst, src0, src1=
   v_cmpx_lt_u64 \dst, \src0, \src1 
.endm

.macro _v_cmpx_eq_i16 dst, src0, src1=
   v_cmpx_eq_i16 \dst, \src0, \src1 
.endm

.macro _v_cmpx_eq_i32 dst, src0, src1=
   v_cmpx_eq_i32 \dst, \src0, \src1 
.endm

.macro _v_cmpx_eq_i64 dst, src0, src1=
   v_cmpx_eq_i64 \dst, \src0, \src1 
.endm

.macro _v_cmpx_eq_u16 dst, src0, src1=
   v_cmpx_eq_u16 \dst, \src0, \src1 
.endm

.macro _v_cmpx_eq_u32 dst, src0, src1=
   v_cmpx_eq_u32 \dst, \src0, \src1 
.endm

.macro _v_cmpx_eq_u64 dst, src0, src1=
   v_cmpx_eq_u64 \dst, \src0, \src1 
.endm

.macro _v_cmpx_le_i16 dst, src0, src1=
   v_cmpx_le_i16 \dst, \src0, \src1 
.endm

.macro _v_cmpx_le_i32 dst, src0, src1=
   v_cmpx_le_i32 \dst, \src0, \src1 
.endm

.macro _v_cmpx_le_i64 dst, src0, src1=
   v_cmpx_le_i64 \dst, \src0, \src1 
.endm

.macro _v_cmpx_le_u16 dst, src0, src1=
   v_cmpx_le_u16 \dst, \src0, \src1 
.endm

.macro _v_cmpx_le_u32 dst, src0, src1=
   v_cmpx_le_u32 \dst, \src0, \src1 
.endm

.macro _v_cmpx_le_u64 dst, src0, src1=
   v_cmpx_le_u64 \dst, \src0, \src1 
.endm

.macro _v_cmpx_gt_i16 dst, src0, src1=
   v_cmpx_gt_i16 \dst, \src0, \src1 
.endm

.macro _v_cmpx_gt_i32 dst, src0, src1=
   v_cmpx_gt_i32 \dst, \src0, \src1 
.endm

.macro _v_cmpx_gt_i64 dst, src0, src1=
   v_cmpx_gt_i64 \dst, \src0, \src1 
.endm

.macro _v_cmpx_gt_u16 dst, src0, src1=
   v_cmpx_gt_u16 \dst, \src0, \src1 
.endm

.macro _v_cmpx_gt_u32 dst, src0, src1=
   v_cmpx_gt_u32 \dst, \src0, \src1 
.endm

.macro _v_cmpx_gt_u64 dst, src0, src1=
   v_cmpx_gt_u64 \dst, \src0, \src1 
.endm

.macro _v_cmpx_ne_i16 dst, src0, src1=
   v_cmpx_ne_i16 \dst, \src0, \src1 
.endm

.macro _v_cmpx_ne_i32 dst, src0, src1=
   v_cmpx_ne_i32 \dst, \src0, \src1 
.endm

.macro _v_cmpx_ne_i64 dst, src0, src1=
   v_cmpx_ne_i64 \dst, \src0, \src1 
.endm

.macro _v_cmpx_ne_u16 dst, src0, src1=
   v_cmpx_ne_u16 \dst, \src0, \src1 
.endm

.macro _v_cmpx_ne_u32 dst, src0, src1=
   v_cmpx_ne_u32 \dst, \src0, \src1 
.endm

.macro _v_cmpx_ne_u64 dst, src0, src1=
   v_cmpx_ne_u64 \dst, \src0, \src1 
.endm

.macro _v_cmpx_lg_i16 dst, src0, src1=
   v_cmpx_lg_i16 \dst, \src0, \src1 
.endm

.macro _v_cmpx_lg_i32 dst, src0, src1=
   v_cmpx_lg_i32 \dst, \src0, \src1 
.endm

.macro _v_cmpx_lg_i64 dst, src0, src1=
   v_cmpx_lg_i64 \dst, \src0, \src1 
.endm

.macro _v_cmpx_lg_u16 dst, src0, src1=
   v_cmpx_lg_u16 \dst, \src0, \src1 
.endm

.macro _v_cmpx_lg_u32 dst, src0, src1=
   v_cmpx_lg_u32 \dst, \src0, \src1 
.endm

.macro _v_cmpx_lg_u64 dst, src0, src1=
   v_cmpx_lg_u64 \dst, \src0, \src1 
.endm

.macro _v_cmpx_ge_i16 dst, src0, src1=
   v_cmpx_ge_i16 \dst, \src0, \src1 
.endm

.macro _v_cmpx_ge_i32 dst, src0, src1=
   v_cmpx_ge_i32 \dst, \src0, \src1 
.endm

.macro _v_cmpx_ge_i64 dst, src0, src1=
   v_cmpx_ge_i64 \dst, \src0, \src1 
.endm

.macro _v_cmpx_ge_u16 dst, src0, src1=
   v_cmpx_ge_u16 \dst, \src0, \src1 
.endm

.macro _v_cmpx_ge_u32 dst, src0, src1=
   v_cmpx_ge_u32 \dst, \src0, \src1 
.endm

.macro _v_cmpx_ge_u64 dst, src0, src1=
   v_cmpx_ge_u64 \dst, \src0, \src1 
.endm

.macro _v_cmpx_o_i16 dst, src0, src1=
   v_cmpx_o_i16 \dst, \src0, \src1 
.endm

.macro _v_cmpx_o_i32 dst, src0, src1=
   v_cmpx_o_i32 \dst, \src0, \src1 
.endm

.macro _v_cmpx_o_i64 dst, src0, src1=
   v_cmpx_o_i64 \dst, \src0, \src1 
.endm

.macro _v_cmpx_o_u16 dst, src0, src1=
   v_cmpx_o_u16 \dst, \src0, \src1 
.endm

.macro _v_cmpx_o_u32 dst, src0, src1=
   v_cmpx_o_u32 \dst, \src0, \src1 
.endm

.macro _v_cmpx_o_u64 dst, src0, src1=
   v_cmpx_o_u64 \dst, \src0, \src1 
.endm

.macro _v_cmpx_u_i16 dst, src0, src1=
   v_cmpx_u_i16 \dst, \src0, \src1 
.endm

.macro _v_cmpx_u_i32 dst, src0, src1=
   v_cmpx_u_i32 \dst, \src0, \src1 
.endm

.macro _v_cmpx_u_i64 dst, src0, src1=
   v_cmpx_u_i64 \dst, \src0, \src1 
.endm

.macro _v_cmpx_u_u16 dst, src0, src1=
   v_cmpx_u_u16 \dst, \src0, \src1 
.endm

.macro _v_cmpx_u_u32 dst, src0, src1=
   v_cmpx_u_u32 \dst, \src0, \src1 
.endm

.macro _v_cmpx_u_u64 dst, src0, src1=
   v_cmpx_u_u64 \dst, \src0, \src1 
.endm
.macro _v_mac_f32 c:req, a:req, b:req
    v_fmac_f32 \c, \a, \b
.endmacro

/* scale global load macros */
.macro _s_load_b32 dst base offset
    s_load_dword \dst \base \offset
.endm

.macro _s_load_b64 dst base offset
    s_load_dwordx2 \dst \base \offset
.endm

.macro _s_load_b128 dst base offset
    s_load_dwordx4 \dst \base \offset
.endm

.macro _s_load_b256 dst base offset
    s_load_dwordx8 \dst \base \offset
.endm

.macro _s_load_b512 dst base offset
    s_load_dwordx16 \dst \base \offset
.endm


/* ds operation macros */
.macro _ds_load_u8 dst src offset
    ds_read_u8 \dst \src \offset
.endm

.macro _ds_load_u8_d16_hi dst src offset
    ds_read_u8_d16_hi \dst \src \offset
.endm

.macro _ds_load_u16 dst src offset
    ds_read_u16 \dst \src \offset
.endm

.macro _ds_load_u16_d16_hi dst src offset
    ds_read_u16_d16_hi \dst \src \offset
.endm

.macro _ds_load_b32 dst src offset
    ds_read_b32 \dst \src \offset
.endm

.macro _ds_load_b64 dst src offset
    ds_read_b64 \dst \src \offset
.endm

.macro _ds_load_b128 dst src offset
    ds_read_b128 \dst \src \offset
.endm

.macro _ds_store_b8 dst src offset
    ds_write_b8 \dst \src \offset
.endm

.macro _ds_store_b8_d16_hi dst src offset
    ds_write_b8_d16_hi \dst \src \offset
.endm

.macro _ds_store_b16 dst src offset
    ds_write_b16 \dst \src \offset
.endm

.macro _ds_store_b16_d16_hi dst src offset
    ds_write_b16_d16_hi \dst \src \offset
.endm

.macro _ds_store_b32 dst src offset
    ds_write_b32 \dst \src \offset
.endm

.macro _ds_store_b64 dst src offset
    ds_write_b64 \dst \src \offset
.endm

.macro _ds_store_b128 dst src offset
    ds_write_b128 \dst \src \offset
.endm

.macro _ds_load2_b32 dst src offset1 offset2
    ds_read2_b32 \dst \src \offset1 \offset2
.endm

.macro _ds_load2_b64 dst src offset1 offset2
    ds_read2_b64 \dst \src \offset1 \offset2
.endm

.macro _ds_store2_b32 dst src offset1 offset2
    ds_write2_b32 \dst \src \offset1 \offset2
.endm

.macro _ds_store2_b64 dst src offset1 offset2
    ds_write2_b64 \dst \src \offset1 \offset2
.endm


/* buffer memory operation macros */
.macro _buffer_load_b32 dst voffset base soffset offen ioffset md0 md1 md2
    buffer_load_dword \dst \voffset \base \soffset \offen \ioffset \md0 \md1 \md2
.endm

.macro _buffer_load_b64 dst voffset base soffset offen ioffset md0 md1 md2
    buffer_load_dwordx2 \dst \voffset \base \soffset \offen \ioffset \md0 \md1 \md2
.endm

.macro _buffer_load_b96 dst voffset base soffset offen ioffset md0 md1 md2
    buffer_load_dwordx3 \dst \voffset \base \soffset \offen \ioffset \md0 \md1 \md2
.endm

.macro _buffer_load_b128 dst voffset base soffset offen ioffset md0 md1 md2
    buffer_load_dwordx4 \dst \voffset \base \soffset \offen \ioffset \md0 \md1 \md2
.endm

.macro _buffer_load_d16_b16 dst voffset base soffset offen ioffset md0 md1 md2
    buffer_load_short_d16 \dst \voffset \base \soffset \offen \ioffset \md0 \md1 \md2
.endm

.macro _buffer_load_d16_hi_b16 dst voffset base soffset offen ioffset md0 md1 md2
    buffer_load_short_d16_hi \dst \voffset \base \soffset \offen \ioffset \md0 \md1 \md2
.endm

.macro _buffer_load_d16_u8 dst voffset base soffset offen ioffset md0 md1 md2
    buffer_load_ubyte_d16 \dst \voffset \base \soffset \offen \ioffset \md0 \md1 \md2
.endm

.macro _buffer_load_d16_hi_u8 dst voffset base soffset offen ioffset md0 md1 md2
    buffer_load_ubyte_d16_hi \dst \voffset \base \soffset \offen \ioffset \md0 \md1 \md2
.endm

.macro _buffer_load_u16 dst voffset base soffset offen ioffset md0 md1 md2
    buffer_load_ushort \dst \voffset \base \soffset \offen \ioffset \md0 \md1 \md2
.endm

.macro _buffer_load_b32_dtl voffset base soffset offen ioffset md0 md1 md2
    buffer_load_dword \voffset \base \soffset \offen \ioffset \md0 \md1 \md2
.endm

.macro _buffer_load_b64_dtl voffset base soffset offen ioffset md0 md1 md2
    buffer_load_dwordx2 \voffset \base \soffset \offen \ioffset \md0 \md1 \md2
.endm

.macro _buffer_load_b128_dtl voffset base soffset offen ioffset md0 md1 md2
    buffer_load_dwordx4 \voffset \base \soffset \offen \ioffset \md0 \md1 \md2
.endm

.macro _buffer_load_u16_dtl voffset base soffset offen ioffset md0 md1 md2
    buffer_load_ushort \voffset \base \soffset \offen \ioffset \md0 \md1 \md2
.endm

.macro _buffer_store_b32 src voffset base soffset offen ioffset md0 md1 md2
    buffer_store_dword \src \voffset \base \soffset \offen \ioffset \md0 \md1 \md2
.endm

.macro _buffer_store_b64 src voffset base soffset offen ioffset md0 md1 md2
    buffer_store_dwordx2 \src \voffset \base \soffset \offen \ioffset \md0 \md1 \md2
.endm

.macro _buffer_store_b96 src voffset base soffset offen ioffset md0 md1 md2
    buffer_store_dwordx3 \src \voffset \base \soffset \offen \ioffset \md0 \md1 \md2
.endm

.macro _buffer_store_b128 src voffset base soffset offen ioffset md0 md1 md2
    buffer_store_dwordx4 \src \voffset \base \soffset \offen \ioffset \md0 \md1 \md2
.endm

.macro _buffer_store_b16 src voffset base soffset offen ioffset md0 md1 md2
    buffer_store_short \src \voffset \base \soffset \offen \ioffset \md0 \md1 \md2
.endm

.macro _buffer_store_d16_hi_b16 src voffset base soffset offen ioffset md0 md1 md2
    buffer_store_short_d16_hi \src \voffset \base \soffset \offen \ioffset \md0 \md1 \md2
.endm

.macro _buffer_store_b8 src voffset base soffset offen ioffset md0 md1 md2
    buffer_store_byte \src \voffset \base \soffset \offen \ioffset \md0 \md1 \md2
.endm

.macro _buffer_store_d16_hi_b8 src voffset base soffset offen ioffset md0 md1 md2
    buffer_store_byte_d16_hi \src \voffset \base \soffset \offen \ioffset \md0 \md1 \md2
.endm

.macro _buffer_atomic_cmpswap_b32 dst voffset base soffset offen ioffset md0 md1 md2
    buffer_atomic_cmpswap \dst \voffset \base \soffset \offen \ioffset \md0 \md1 \md2
.endm

.macro _buffer_atomic_cmpswap_b64 dst voffset base soffset offen ioffset md0 md1 md2
    buffer_atomic_cmpswap_x2 \dst \voffset \base \soffset \offen \ioffset \md0 \md1 \md2
.endm


/* buffer memory operation macros */
.macro _global_load_b32 dst base src ioffset md0 md1 md2
    global_load_dword \dst \base \src \ioffset \md0 \md1 \md2
.endm

.macro _global_load_b64 dst base src ioffset md0 md1 md2
    global_load_dwordx2 \dst \base \src \ioffset \md0 \md1 \md2
.endm

.macro _global_load_b96 dst base src ioffset md0 md1 md2
    global_load_dwordx3 \dst \base \src \ioffset \md0 \md1 \md2
.endm

.macro _global_load_b128 dst base src ioffset md0 md1 md2
    global_load_dwordx4 \dst \base \src \ioffset \md0 \md1 \md2
.endm

.macro _global_load_d16_b16 dst base src ioffset md0 md1 md2
    global_load_short_d16 \dst \base \src \ioffset \md0 \md1 \md2
.endm

.macro _global_load_d16_hi_b16 dst base src ioffset md0 md1 md2
    global_load_short_d16_hi \dst \base \src \ioffset \md0 \md1 \md2
.endm

.macro _global_load_d16_u8 dst base src ioffset md0 md1 md2
    global_load_ubyte_d16 \dst \base \src \ioffset \md0 \md1 \md2
.endm

.macro _global_load_d16_hi_u8 dst base src ioffset md0 md1 md2
    global_load_ubyte_d16_hi \dst \base \src \ioffset \md0 \md1 \md2
.endm

.macro _global_load_u16 dst base src ioffset md0 md1 md2
    global_load_ushort \dst \base \src \ioffset \md0 \md1 \md2
.endm

.macro _global_store_b32 base src src2 md0 md1 md2
    global_store_dword \base \src \src2 \md0 \md1 \md2
.endm

.macro _global_store_b64 base src src2 md0 md1 md2
    global_store_dwordx2 \base \src \src2 \md0 \md1 \md2
.endm

.macro _global_store_b96 base src src2 md0 md1 md2
    global_store_dwordx3 \base \src \src2 \md0 \md1 \md2
.endm

.macro _global_store_b128 base src src2 md0 md1 md2
    global_store_dwordx4 \base \src \src2 \md0 \md1 \md2
.endm

.macro _global_store_d16_b16 base src src2 md0 md1 md2
    global_store_short \base \src \src2 \md0 \md1 \md2
.endm

.macro _global_store_d16_hi_b16 base src src2 md0 md1 md2
    global_store_short_d16_hi \base \src \src2 \md0 \md1 \md2
.endm

.macro _global_store_d16_u8 base src src2 md0 md1 md2
    global_store_ubyte_d16 \base \src \src2 \md0 \md1 \md2
.endm

.macro _global_store_d16_hi_u8 base src src2 md0 md1 md2
    global_store_ubyte_d16_hi \base \src \src2 \md0 \md1 \md2
.endm

.macro _global_store_u16 base src src2 md0 md1 md2
    global_store_ushort \base \src \src2 \md0 \md1 \md2
.endm

.macro _global_atomic_cmpswap_b32 tmp base data src ioffset md
    global_atomic_cmpswap \tmp \base \data \src \ioffset \md
.endm

.macro _global_atomic_cmpswap_b64 tmp base data src ioffset md
    global_atomic_cmpswap_x2 \tmp \base \data \src \ioffset \md
.endm


/******************************************/
/* Magic div and mod functions            */
/******************************************/
.macro V_MAGIC_DIV dstIdx:req, dividend:req, magicNumber:req, magicShift:req, magicA:req
    v_mul_hi_u32 v[\dstIdx+1], \dividend, \magicNumber
    v_mul_lo_u32 v[\dstIdx+0], \dividend, \magicA
    _v_add_u32 v[\dstIdx+0], v[\dstIdx+0], v[\dstIdx+1]
    v_lshrrev_b32 v[\dstIdx+0], \magicShift, v[\dstIdx+0]
.endm

/******************************************/
/* VGPR Assignments                       */
/******************************************/
/* ValuC range: [0-0), serializedStore enabled */
.set vgprValuC, 0
/* ValuA/B   Xn=PLR buffer idx,  In=InnerUnroll idx */
.set vgprValuA_X0_I0, 0
.set vgprValuA_X1_I0, 10
.set vgprValuA_X2_I0, 20
.set vgprValuA_X3_I0, 30
.set vgprG2LA, 60
.set vgprValuB_X0_I0, 40
.set vgprValuB_X1_I0, 42
.set vgprValuB_X2_I0, 44
.set vgprValuB_X3_I0, 46
.set vgprG2LB, 70
.set vgprLocalWriteAddrA, 48
.set vgprLocalWriteAddrB, 49
.set vgprGlobalReadOffsetA, 50
.set vgprGlobalReadOffsetB, 55
.set vgprLocalReadAddrA, 78
.set vgprLocalReadAddrB, 79
.set vgprG2Lpipe0, 80
.set vgprG2Lpipe1, 81
.set vgprFp16AltTmp, 82
.set vgprSerial, 83
/* Num VGPR=256 */
/* Num AccVGPR=80 */

/******************************************/
/* SGPR Assignments                       */
/******************************************/
.set sgprKernArgAddress, 0 // (2)
.set sgprWorkGroup0, 2 // (1)
.set sgprWorkGroup1, 3 // (1)
.set sgprWorkGroup2, 4 // (1)
.set sgprGSUSumIdx, 5 // (2)
.set sgprLoopCounterL, 7 // (1)
.set sgprOrigLoopCounter, 8 // (1)
.set sgprSrdA, 12 // (4)
.set sgprSrdB, 16 // (4)
.set sgprSrdD, 20 // (4)
.set sgprSrdC, 24 // (4)
.set sgprTensor2dSizeA, 28 // (2)
.set sgprTensor2dSizeB, 30 // (2)
.set sgprAddressD, 32 // (2)
.set sgprAddressC, 34 // (2)
.set sgprAddressA, 36 // (2)
.set sgprAddressB, 38 // (2)
.set sgprAlpha, 40 // (1)
.set sgprBeta, 41 // (1)
.set sgprStridesD, 42 // (2)
.set sgprStridesC, 44 // (2)
.set sgprStridesA, 46 // (2)
.set sgprStridesB, 48 // (2)
.set sgprSizesFree, 50 // (3)
.set sgprSizesSum, 53 // (1)
.set sgprOrigStaggerUIter, 54 // (1)
.set sgprNumWorkGroups0, 55 // (1)
.set sgprNumWorkGroups1, 56 // (1)
.set sgprNumFullBlocks, 57 // (1)
.set sgprWgmRemainder1, 58 // (1)
.set sgprMagicNumberWgmRemainder1, 59 // (1)
.set sgprShadowLimitA, 0 // (2)
.set sgprShadowLimitB, 32 // (2)
.set sgprStaggerUIter, 9 // (1)
.set sgprWrapUA, 34 // (2)
.set sgprWrapUB, 36 // (2)
.set sgprGlobalReadIncsA, 38 // (1)
.set sgprGlobalReadIncsB, 39 // (1)
.set sgprFp16AltOffset, 60 // (1)
.set sgprFp16AltNanCheck, 62 // (2)
/* max SGPR=70 */

/* Size Assignments */
.set sgprSizeI, sgprSizesFree+0
.set sgprSizeJ, sgprSizesFree+1
.set sgprSizeK, sgprSizesFree+2
.set sgprSizeL, sgprSizesSum+0

/* Stride Assignments */
.set constStrideD0I, 1
.set sgprStrideD1J, sgprStridesD+0
.set sgprStrideDK, sgprStridesD+1
.set constStrideC0I, 1
.set sgprStrideC1J, sgprStridesC+0
.set sgprStrideCK, sgprStridesC+1
.set constStrideA0I, 1
.set sgprStrideAL, sgprStridesA+0
.set sgprStrideAK, sgprStridesA+1
.set constStrideBL, 1
.set sgprStrideB1J, sgprStridesB+0
.set sgprStrideBK, sgprStridesB+1

.set MT0, 160
.set MT1, 128
.set DepthU, 32
.set GSU, 3
.set BpeA, 2
.set BpeALog2, 1
.set BpeB, 2
.set BpeBLog2, 1
/* Number of elements to shift-left SRD */
.set SrdShiftLeftA, 4
.set SrdShiftLeftB, 4
/* 2GB limit - set offsets to -1 to exceed this and clamp */
.set BufferLimitA, 0xffffffff
.set BufferLimitB, 0xffffffff
.set BufferOOB, 0xfffff000

/******************************************/
/* Bits 127:96 of SRD.                    */
/* hex: 0x00020000                        */
/* dst_sel_x (3b): 0                      */
/* dst_sel_y (3b): 0                      */
/* dst_sel_z (3b): 0                      */
/* dst_sel_w (3b): 0                      */
/* num_format (3b): 0                     */
/* data_format (4b): 4                    */
/* user_vm_enable (1b): 0                 */
/* user_vm_mode (1b): 0                   */
/* index_stride (2b): 0                   */
/* add_tid_enable (1b): 0                 */
/* _unusedA (3b): 0                       */
/* nv (1b): 0                             */
/* _unusedB (2b): 0                       */
/* type (2b): 0                           */
/******************************************/
.set Srd127_96, 0x00020000

/* Global Offset A */
.macro GLOBAL_OFFSET_A vgprAddr:req vgprOffset0I:req vgprOffsetL:req vgprTmp:req
v_mul_lo_u32 v[\vgprTmp+0], s[sgprStrideAL], v[\vgprOffsetL] // mul d1 lower
_v_add_co_u32 v[\vgprAddr+0], vcc, v[\vgprOffset0I], v[\vgprTmp+0] // accumulate K lower
_v_add_u32 v[\vgprAddr+0], 0x4, v[\vgprAddr+0]     // add prepad for pointer shift
v_lshlrev_b32 v[\vgprAddr+0], 0x1, v[\vgprAddr+0]  // offset *= bytes/element
.endm

/* Global Offset B */
.macro GLOBAL_OFFSET_B vgprAddr:req vgprOffsetL:req vgprOffset1J:req vgprTmp:req
v_mul_lo_u32 v[\vgprTmp+0], s[sgprStrideB1J], v[\vgprOffset1J] // mul d1 lower
_v_add_co_u32 v[\vgprAddr+0], vcc, v[\vgprOffsetL], v[\vgprTmp+0] // accumulate K lower
_v_add_u32 v[\vgprAddr+0], 0x4, v[\vgprAddr+0]     // add prepad for pointer shift
v_lshlrev_b32 v[\vgprAddr+0], 0x1, v[\vgprAddr+0]  // offset *= bytes/element
.endm

/******************************************/
/* Dynamic Scalar Divide: vQuotient=vDividend/vDivisor; vRemainder=vDividend%vDivisor; */
/******************************************/
.macro DYNAMIC_VECTOR_DIVIDE vQuotient vRemainder vDividend vDivisor vTmp0 vTmp1 sTmp
v_cvt_f32_u32 v[\vQuotient], v[\vDivisor]          // 
v_rcp_f32 v[\vQuotient], v[\vQuotient]             // 
v_mul_f32 v[\vQuotient], 0x4f800000, v[\vQuotient] // 
v_cvt_u32_f32 v[\vQuotient], v[\vQuotient]         // 
v_mul_lo_u32 v[\vRemainder], v[\vDivisor], v[\vQuotient] // 
v_mul_hi_u32 v[\vTmp0], v[\vDivisor], v[\vQuotient] // 
_v_sub_co_u32 v[\vTmp1], vcc, 0x0, v[\vRemainder]  // 
v_cmp_ne_i32 s[\sTmp:\sTmp+1], 0x0, v[\vTmp0]      // 
v_cndmask_b32 v[\vRemainder], v[\vTmp1], v[\vRemainder], s[\sTmp:\sTmp+1] // 
v_mul_hi_u32 v[\vRemainder], v[\vRemainder], v[\vQuotient] // 
_v_sub_co_u32 v[\vTmp0], vcc, v[\vQuotient], v[\vRemainder] // 
_v_add_co_u32 v[\vQuotient], vcc, v[\vQuotient], v[\vRemainder] // 
v_cndmask_b32 v[\vQuotient], v[\vQuotient], v[\vTmp0], s[\sTmp:\sTmp+1] // 
v_mul_hi_u32 v[\vQuotient], v[\vQuotient], v[\vDividend] // 
v_mul_lo_u32 v[\vRemainder], v[\vQuotient], v[\vDivisor] // 
_v_sub_co_u32 v[\vTmp0], vcc, v[\vDividend], v[\vRemainder] // 
v_cmp_ge_u32 s[\sTmp:\sTmp+1], v[\vDividend], v[\vRemainder] // 
_v_add_co_u32 v[\vRemainder], vcc, 0x1, v[\vQuotient] // 
_v_add_co_u32 v[\vTmp1], vcc, -1, v[\vQuotient]    // 
v_cmp_le_u32 vcc, v[\vDivisor], v[\vTmp0]          // 
s_and_b64 vcc, s[\sTmp:\sTmp+1], vcc               // 
v_cndmask_b32 v[\vQuotient], v[\vQuotient], v[\vRemainder], vcc // 
v_cndmask_b32 v[\vQuotient], v[\vTmp1], v[\vQuotient], s[\sTmp:\sTmp+1] // 
v_cmp_ne_i32 vcc, 0x0, v[\vDivisor]                // 
v_cndmask_b32 v[\vQuotient], -1, v[\vQuotient], vcc // final result
v_mul_lo_u32 v[\vRemainder], v[\vQuotient], v[\vDivisor] // 
_v_sub_co_u32 v[\vRemainder], vcc, v[\vDividend], v[\vRemainder] // final result
.endm


	;; [unrolled: 1-line block ×3, first 2 shown]
/******************************************/
/* Allocate Resources                     */
/******************************************/

Cijk_Ailk_Bljk_HHS_BHRZ_MT160x128x32_MI32x32x8x1_SN_1LDSB0_APM1_ABV0_ACED0_AF0EM1_AF1EM1_AMAS0_ASE_ASGT_ASLT_ASEM1_AAC0_BL1_BS1_CLR0_DTVA0_DVO0_ETSP_EPS0_EMLL0_FL0_GLVWA4_GLVWB4_GRPM1_GRVW4_GSU3_GSUAMB_GLS0_ISA90a_IU1_K1_KLA_LBSPPA0_LBSPPB128_LPA0_LPB8_LDL1_LRVW8_LWPMn1_LDW0_FMA_MIAV0_MO1_MMFGLC_NTA0_NTB0_NTC0_NTD0_NEPBS0_NLCA5_NLCB1_ONLL1_OPLV0_PK0_PAP0_PGR2_PLR5_SIA3_SS1_SU4_SUM0_SUS256_SCIUI1_SPO0_SRVW0_SSO0_SVW1_SNLL0_TSGRA0_TSGRB0_TT5_32_TLDS1_UMLDSA0_UMLDSB1_USFGROn1_VAW1_VSn1_VW1_VWB1_VFLRP0_WSGRA0_WSGRB1_WG32_8_1_WGM8_preloaded: // Kernel start when preloading

/* Load Kernel Args */
_s_load_b512 s[28:43], s[sgprKernArgAddress:sgprKernArgAddress+1], 0x0 // 
_s_load_b512 s[44:59], s[sgprKernArgAddress:sgprKernArgAddress+1], 0x40 // 
s_mov_b32 m0, 0x10000                              // LDS clamp at 65536 bytes
v_mov_b32 v[vgprSerial], v0                        // thread serial id

/******************************************/
/* Local Read Addresses                   */
/******************************************/


/* local read addresses: tile assignments a/b */

/*lr0I*/
v_and_b32 v1, 63, v[vgprSerial]                    // 0. thread id in wave: wtid = tid % wavelength(64)
v_and_b32 v0, 31, v1                               // 1. N offset: nIdx = wtid % MI_N(32)
                                                   // 1. N offset: nOffset = nIdx * nStride(1) (multiplier is 1, do nothing)
                                                   // 2. block offset: bnIdx = bnIdx % num1DBlocks(1) is 0. do nothing
                                                   // 4. apply VectorWidth: bnOffset = bnOffset * vw(1) (multiplier is 1, do nothing)
v_lshrrev_b32 v1, 5, v1                            // 5. K offset: kIdx = wtid / (MIN(32) * MIBB(1))
s_mov_b32 s9, 0x500                                // 5. K offset: lrKOffset = kIdx * mStride(1280)
v_mul_lo_u32 v1, s9, v1                            // 5. K offset: lrKOffset = kIdx * mStride(1280)
_v_add_u32 v0, v1, v0                              // 6. offset in wave: lrOffset = bnOffset + lrKOffset
/*lr1J*/
v_and_b32 v2, 63, v[vgprSerial]                    // 0. thread id in wave: wtid = tid % wavelength(64)
v_and_b32 v1, 31, v2                               // 1. N offset: nIdx = wtid % MI_N(32)
v_lshlrev_b32 v1, 0x5, v1                          // 1. N offset: nOffset = nIdx * nStride(32)
                                                   // 2. block offset: bnIdx = bnIdx % num1DBlocks(1) is 0. do nothing
                                                   // 4. apply VectorWidth: bnOffset = bnOffset * vw(1) (multiplier is 1, do nothing)
v_lshrrev_b32 v2, 5, v2                            // 5. K offset: kIdx = wtid / (MIN(32) * MIBB(1))
v_lshlrev_b32 v2, 0x3, v2                          // 5. K offset: lrKOffset = kIdx * mStride(8)
_v_add_u32 v1, v2, v1                              // 6. offset in wave: lrOffset = bnOffset + lrKOffset
v_lshrrev_b32 v3, 6, v[vgprSerial]                 // 7. wave offset in N dimen: wtid = tid / dividedForWaveId(64)
v_and_b32 v2, 3, v3                                // 7. wave offset in M dimen: wtid0 = wtid / num1DWaves(4)
v_lshlrev_b32 v2, 0xa, v2                          // 7. wave offset in M dimen: wOffset = wtid0 * W0Stride(1024)
_v_add_u32 v1, v2, v1                              // 8. final local read offset: flrOffset = lrOffset + WOffset


/* local read addresses: final offsets a */

v_lshlrev_b32 v[vgprLocalReadAddrA], 0x1, v0       // Final Offset: offset = (lro0)*bpe


/* local read addresses: final offsets b */

v_lshlrev_b32 v[vgprLocalReadAddrB], 0x1, v1       // Final Offset: offset = (lro1)*bpe
v_lshrrev_b32 v0, 7, v[vgprLocalReadAddrB]         // Final Offset: padding 8 per block 128
v_lshlrev_b32 v0, 0x4, v0                          // Final Offset: padding 8 per block 128
_v_add_u32 v[vgprLocalReadAddrB], v0, v[vgprLocalReadAddrB] // Final Offset: add padding 8 per block 128


/* local read addresses: declare addresses a */

/* N/A */


/* local read addresses: declare addresses b */

_v_add_co_u32 v[vgprLocalReadAddrB+0], vcc, 0x2800, v[vgprLocalReadAddrB+0] //  += LdsOffsetB (lower)


/* global read addresses: tile offset assignment a */

/* LVCA = 8 */
/* v0 = (local)groA-tile = serial%LVCA (note (wgA*MTA) will be added to SRD) */
/* v1 = groA-unroll = serial/LVCA */
v_lshrrev_b32 v1, 3, v[vgprSerial]                 // v1 = v[vgprSerial] / 8
v_and_b32 v0, 7, v[vgprSerial]                     // v0 = v[vgprSerial] % 8
/* gro-tile *= glvw */
v_lshlrev_b32 v0, 0x2, v0                          // v0 = v0 * 4
v_mov_b32 v2, v1                                   // copy for GlobalSplitU


/* global read addresses: tile offset assignment b */

/* LVCB = 8 */
/* v3 = (local)groB-tile = serial/LVCB (note (wgB*MTB) will be added to SRD) */
/* v4 = groB-unroll = serial%LVCB */
v_and_b32 v5, 63, v[vgprSerial]                    // v5 = v[vgprSerial] % 64
v_lshrrev_b32 v3, 3, v5                            // v3 = v5 / 8
v_and_b32 v4, 7, v5                                // v4 = v5 % 8
v_readfirstlane_b32 s10, v[vgprSerial]             // WaveIdxWavefrontWidth
s_lshr_b32 s10, s10, 0x6                           // WaveId
s_mul_i32 s10, s10, 32                             // Global Read Wave: each wave loads continuous lsp(8)*nrp(4) columns
_v_add_u32 v3, s10, v3                             // Global Read Wave: add back to column index
/* gro-unroll *= glvw */
v_lshlrev_b32 v4, 0x2, v4                          // v4 = v4 * 4
v_mov_b32 v5, v4                                   // copy for GlobalSplitU


/******************************************/
/* Local Write Addresses                  */
/******************************************/

/* lwaTileAssignmentA = v0 */

/* lwaTileAssignmentB = v3 */

/* lwaUnrollAssignmentA = v2 */

/* lwaUnrollAssignmentB = v5 */


/* local write addresses: first offset a */

v_mul_u32_u24 v[vgprLocalWriteAddrA], 0xa0, v2     // lwAL**(MTA + PAD)
_v_add_lshl_u32 v[vgprLocalWriteAddrA], v0, v[vgprLocalWriteAddrA], 0x1 // lwFOA = (lwAA + lwAL*(MT0I+PAD))*bpe


/* local write addresses: first offset b */

v_mul_u32_u24 v[vgprLocalWriteAddrB], 0x20, v3     // lwBL**(DepthU_Compute + PAD)
_v_add_lshl_u32 v[vgprLocalWriteAddrB], v5, v[vgprLocalWriteAddrB], 0x1 // lwFOB = (lwBB + lwBL*(DepthU+PAD))*bpe
v_lshrrev_b32 v6, 7, v[vgprLocalWriteAddrB]        // padding 8 per block 128
v_lshlrev_b32 v6, 0x4, v6                          // padding 8 per block 128
_v_add_u32 v[vgprLocalWriteAddrB], v6, v[vgprLocalWriteAddrB] // add padding 8 per block 128
_v_add_co_u32 v[vgprLocalWriteAddrB], vcc, 0x2800, v[vgprLocalWriteAddrB] // lwFOB = lwB1J + lwBL*MT1J + LDS_OFFSET_B=5120*2


	;; [unrolled: 1-line block ×7, first 2 shown]
s_waitcnt lgkmcnt(0)                               // wait for 128 bytes of kern args
s_mov_b64 s[sgprSrdC+0:sgprSrdC+0+1], s[sgprAddressC+0:sgprAddressC+0+1] // copy addressC
s_mov_b64 s[sgprSrdD+0:sgprSrdD+0+1], s[sgprAddressD+0:sgprAddressD+0+1] // copy addressD
s_sub_u32 s[sgprSrdA+0], s[sgprAddressA+0], 8      // pre-pad to make room for possible pointer shift
s_subb_u32 s[sgprSrdA+1], s[sgprAddressA+1], 0     // pre-pad to make room for possible pointer shift
s_sub_u32 s[sgprSrdB+0], s[sgprAddressB+0], 8      // pre-pad to make room for possible pointer shift
s_subb_u32 s[sgprSrdB+1], s[sgprAddressB+1], 0     // pre-pad to make room for possible pointer shift

.set AddressD, UNDEF
.set AddressC, UNDEF
.set AddressA, UNDEF
.set AddressB, UNDEF

/* Short circuit condition if Alpha == 0, then sumDims=0 */
v_cmp_eq_f32 vcc, s[sgprAlpha], 0.0                // Alpha == 0.0f ?
s_cbranch_vccz label_AlphaNonZero                  // branch if alpha != 0
s_mov_b32 s[sgprSizesSum+0], 0x0                   // Set summation dim=0 if Alpha == 0
label_AlphaNonZero:
s_mov_b32 s[sgprFp16AltOffset], 0x7FFF             // Set rounding coeff if Fp16AltImplNtz enabled



/******************************************/
/* Begin setupNewTile, isPap=False           */
/******************************************/


/* global read addresses: work-group */

/* graWorkGroup mapping */
// GSU-not-WGMapRR :nwg1 = (size1J + MT1J - 1) / MT1J;
s_mov_b32 s66, s[sgprWorkGroup1]                   // copying for divisor
s_mov_b32 s65, 0x0                                 // STATIC_DIV: divisior=3
s_mul_i32 s64, 0xaaaa, s66                         // tmp1 = dividend * magic hi
s_lshl_b64 s[64:65], s[64:65], 0x10                // left shift 16 bits
s_mul_i32 s[sgprWorkGroup1], s66, 0xaaab           // tmp0 = dividend * magic lo
s_add_u32 s64, s[sgprWorkGroup1], s64              // add lo
s_addc_u32 s65, s65, 0x0                           // add hi
s_lshr_b64 s[64:65], s[64:65], 0x21                // tmp1 = (dividend * magic) << shift
s_mov_b32 s[sgprWorkGroup1], s64                   // quotient
s_mul_i32 s64, s[sgprWorkGroup1], 0x3              // quotient*divisor
s_sub_u32 s[sgprGSUSumIdx], s66, s64               // rReg = dividend - quotient*divisor
s_mov_b32 s67, 0x10000001L                         // magic number for WGM==8
s_mul_hi_u32 s65, s[sgprWorkGroup1], s67           // s_magic mul
s_mul_i32 s64, s[sgprWorkGroup1], s67              // s_magic mul
s_lshr_b64 s[64:65], s[64:65], 31                  // sMagicDiv
s_mul_i32 s65, s64, 8                              // quotient * non-magic divisor
s_sub_u32 s65, s[sgprWorkGroup1], s65              // WorkGroup1=remainder
s_mul_i32 s65, s65, s[sgprNumWorkGroups0]          // (wg1 % WGM)*nwg0
s_add_u32 s65, s65, s[sgprWorkGroup0]              // wgSerial = wg0 + (wg1 % WGM)*nwg1
s_cmp_ge_u32 s64, s[sgprNumFullBlocks]             // blockId >= numFullBlocks ?
s_cmov_b32 s67, s[sgprMagicNumberWgmRemainder1]    // 
s_cselect_b32 s66, s[sgprWgmRemainder1], 8         // 
s_mul_hi_u32 s3, s65, s67                          // s_magic mul
s_mul_i32 s2, s65, s67                             // s_magic mul
s_lshr_b64 s[2:3], s[2:3], 31                      // sMagicDiv
s_mul_i32 s[sgprWorkGroup1], s[sgprWorkGroup0], s66 // quotient * non-magic divisor
s_sub_u32 s[sgprWorkGroup1], s65, s[sgprWorkGroup1] // WorkGroup1=remainder
s_mul_i32 s64, s64, 8                              // blockId * WGM
s_add_u32 s[sgprWorkGroup1], s[sgprWorkGroup1], s64 // wg1 += blockId * WGM


/* global read addresses: unroll assignment a */

/* v1 */


/* global read addresses: unroll assignment b */

/* v4 */


/* global read addresses: other free assignments */

/* s[sgprWorkGroup2] */


/* global read addresses: tile offsets a */

v_mov_b32 v6, v0                                   // groA0I_0
_v_add_co_u32 v7, vcc, 32, v6                      // groA0I_1 += LSCA
_v_add_co_u32 v8, vcc, 32, v7                      // groA0I_2 += LSCA
_v_add_co_u32 v9, vcc, 32, v8                      // groA0I_3 += LSCA
_v_add_co_u32 v10, vcc, 32, v9                     // groA0I_4 += LSCA


/* global read addresses: tile offsets b */

v_mov_b32 v11, v3                                  // groB1J_0
_v_add_co_u32 v12, vcc, 8, v11                     // groB1J_1 += LSPB
_v_add_co_u32 v13, vcc, 8, v12                     // groB1J_2 += LSPB
_v_add_co_u32 v14, vcc, 8, v13                     // groB1J_3 += LSPB


/* global read addresses: unroll offsets a */

v_mov_b32 v15, v1                                  // groAL_0


/* global read addresses: unroll offsets b */

v_mov_b32 v16, v4                                  // groBL_0


/* global read addresses: shift a */

s_mul_i32 s61, s[sgprWorkGroup0], 160              // WorkGroup[01] * MT
s_sub_u32 s61, s[sgprSizeI], s61                   // edge = Size0I - WG*MT
s_sub_u32 s61, s61, 4                              // edge -= margin(4)
v_mov_b32 v17, s61                                 // edge vgpr = Size0I- WG*MT - margin(4)
v_min_i32 v6, v17, v6                              // offset = (offset < edge) ? offset(v6) : edge(v17)
v_min_i32 v7, v17, v7                              // offset = (offset < edge) ? offset(v7) : edge(v17)
	;; [unrolled: 1-line block ×4, first 2 shown]
v_min_i32 v10, v17, v10                            // offset = (offset < edge) ? offset(v10) : edge(v17)


/* global read addresses: final offsets a */

GLOBAL_OFFSET_A vgprGlobalReadOffsetA+0,  6, 15, 17 // gROA_0_0_0_0
GLOBAL_OFFSET_A vgprGlobalReadOffsetA+1,  7, 15, 17 // gROA_1_0_0_0
GLOBAL_OFFSET_A vgprGlobalReadOffsetA+2,  8, 15, 17 // gROA_2_0_0_0
GLOBAL_OFFSET_A vgprGlobalReadOffsetA+3,  9, 15, 17 // gROA_3_0_0_0
GLOBAL_OFFSET_A vgprGlobalReadOffsetA+4, 10, 15, 17 // gROA_4_0_0_0


/* global read addresses: final offsets b */

GLOBAL_OFFSET_B vgprGlobalReadOffsetB+0, 16, 11, 6 // gROB_0_0_0_0
GLOBAL_OFFSET_B vgprGlobalReadOffsetB+1, 16, 12, 6 // gROB_0_0_1_0
GLOBAL_OFFSET_B vgprGlobalReadOffsetB+2, 16, 13, 6 // gROB_0_0_2_0
GLOBAL_OFFSET_B vgprGlobalReadOffsetB+3, 16, 14, 6 // gROB_0_0_3_0


/* global read addresses: addresses a */

/* max read offset = size[n] * stride[n-1] */
s_mul_hi_u32 s67, s[sgprWorkGroup0], 160           // WorkGroup[01] * MT
s_mul_i32 s66, s[sgprWorkGroup0], 160              // WorkGroup[01] * MT
s_mul_hi_u32 s65, 32, s[sgprGSUSumIdx]             // gsuOffset = DepthU*bpe*GSUSumIdx
s_mul_i32 s64, 32, s[sgprGSUSumIdx]                // gsuOffset = DepthU*bpe*GSUSumIdx
s_mul_hi_u32 s65, s64, s[sgprStrideAL]             // tlu=1, scaled unroll-offset by stride
s_mul_i32 s64, s64, s[sgprStrideAL]                // tlu=1, scaled unroll-offset by stride
s_add_u32 s66, s66, s64                            // accum GsuOffset term to tilestart
s_addc_u32 s67, s67, s65                           // accum GsuOffset term to tilestart
s_sub_u32 s[sgprShadowLimitA+0], s[sgprTensor2dSizeA], s66 // sub tileStart
s_subb_u32 s[sgprShadowLimitA+1], s[sgprTensor2dSizeA+1], s67 // sub tileStart
s_lshl_b64 s[sgprShadowLimitA:sgprShadowLimitA+1], s[sgprShadowLimitA:sgprShadowLimitA+1], 0x1 // Set limit to use bytes
s_add_u32 s[sgprShadowLimitA+0], s[sgprShadowLimitA+0], 8 // extend limit for pre-pad
s_addc_u32 s[sgprShadowLimitA+1], s[sgprShadowLimitA+1], 0 // extend limit for pre-pad
s_cmp_eq_u32 s[sgprShadowLimitA+1], 0              // are we within 2^32?
s_cselect_b32 s[sgprSrdA+2], s[sgprShadowLimitA+0], BufferLimitA // Move shadow to real if we are within 2^32
s_mul_hi_u32 s65, s[sgprStrideAK], s[sgprWorkGroup2] // Stride*WG
s_mul_i32 s64, s[sgprStrideAK], s[sgprWorkGroup2]  // Stride*WG
s_add_u32 s66, s66, s64                            // accum wg term to tilestart
s_addc_u32 s67, s67, s65                           // accum wg term to tilestart
s_lshl_b64 s[66:67], s[66:67], 0x1                 // tileStart *= BPE
s_add_u32 s[sgprSrdA+0], s[sgprSrdA+0], s66        // SRD base = Address+ tileStart0
s_addc_u32 s[sgprSrdA+1], s[sgprSrdA+1], s67       // SRD base = Address+ tileStart1
s_mov_b32 s[sgprSrdA+3], Srd127_96                 // Set bits 127_96 in SRD


/* global read addresses: addresses b */

/* max read offset = size[n] * stride[n-1] */
s_mul_hi_u32 s67, s[sgprWorkGroup1], 128           // WorkGroup[01] * MT
s_mul_i32 s66, s[sgprWorkGroup1], 128              // WorkGroup[01] * MT
s_mul_hi_u32 s67, s66, s[sgprStrideB1J]            // tlu=0, scaled tile-offset by stride
s_mul_i32 s66, s66, s[sgprStrideB1J]               // tlu=0, scaled tile-offset by stride
s_mul_hi_u32 s65, 32, s[sgprGSUSumIdx]             // gsuOffset = DepthU*bpe*GSUSumIdx
s_mul_i32 s64, 32, s[sgprGSUSumIdx]                // gsuOffset = DepthU*bpe*GSUSumIdx
s_add_u32 s66, s66, s64                            // accum GsuOffset term to tilestart
s_addc_u32 s67, s67, s65                           // accum GsuOffset term to tilestart
s_sub_u32 s[sgprShadowLimitB+0], s[sgprTensor2dSizeB], s66 // sub tileStart
s_subb_u32 s[sgprShadowLimitB+1], s[sgprTensor2dSizeB+1], s67 // sub tileStart
s_lshl_b64 s[sgprShadowLimitB:sgprShadowLimitB+1], s[sgprShadowLimitB:sgprShadowLimitB+1], 0x1 // Set limit to use bytes
s_add_u32 s[sgprShadowLimitB+0], s[sgprShadowLimitB+0], 8 // extend limit for pre-pad
s_addc_u32 s[sgprShadowLimitB+1], s[sgprShadowLimitB+1], 0 // extend limit for pre-pad
s_cmp_eq_u32 s[sgprShadowLimitB+1], 0              // are we within 2^32?
s_cselect_b32 s[sgprSrdB+2], s[sgprShadowLimitB+0], BufferLimitB // Move shadow to real if we are within 2^32
s_mul_hi_u32 s65, s[sgprStrideBK], s[sgprWorkGroup2] // Stride*WG
s_mul_i32 s64, s[sgprStrideBK], s[sgprWorkGroup2]  // Stride*WG
s_add_u32 s66, s66, s64                            // accum wg term to tilestart
s_addc_u32 s67, s67, s65                           // accum wg term to tilestart
s_lshl_b64 s[66:67], s[66:67], 0x1                 // tileStart *= BPE
s_add_u32 s[sgprSrdB+0], s[sgprSrdB+0], s66        // SRD base = Address+ tileStart0
s_addc_u32 s[sgprSrdB+1], s[sgprSrdB+1], s67       // SRD base = Address+ tileStart1
s_mov_b32 s[sgprSrdB+3], Srd127_96                 // Set bits 127_96 in SRD


/* global read addresses: increments a */

s_mul_i32 s[sgprGlobalReadIncsA+0], DepthU*BpeA*3, s[sgprStrideAL] // incrA unrollIdx)


/* global read addresses: increments b */

s_mov_b32 s[sgprGlobalReadIncsB+0], DepthU*BpeB*3  // incrB (unrollIdx)

/* declare loop num iterations */


s_lshr_b32 s[sgprLoopCounterL], s[sgprSizesSum+0], 5 // s[sgprLoopCounterL] = s[sgprSizesSum+0] / 32
v_mov_b32 v2, s[sgprLoopCounterL]                  // copy for divide IterGsu
s_mov_b32 s64, 0xaaaaaaab                          // v0 = v2 / 3
v_mul_hi_u32 v0, v2, s64                           // v0 = v2 / 3
v_lshrrev_b32 v0, 0x1, v0                          // v0 = v2 / 3
s_mov_b32 s64, 0x3                                 // v1 = v2 % 3
v_mul_lo_u32 v1, v0, s64                           // v1 = v2 % 3
_v_sub_u32 v1, v2, v1                              // v1 = v2 % 3
v_readfirstlane_b32 s[sgprLoopCounterL], v0        // 
v_readfirstlane_b32 s[sgprGSUSumIdx+1], v1         // 
s_add_u32 s64, 1, s[sgprLoopCounterL]              // tmp<-numIterMyWg+
s_cmp_lt_u32 s[sgprGSUSumIdx], s[sgprGSUSumIdx+1]  // gsuSumIdx < numIterPerWgRemainder
s_cmov_b32 s[sgprLoopCounterL], s64                // numIterMyWg++ if needed
s_mov_b32 s[sgprOrigLoopCounter], s[sgprLoopCounterL] // copy loop counter

s_and_b32 s[sgprStaggerUIter], s[sgprOrigStaggerUIter], s[sgprWorkGroup0] // Compute actual stagger start for this tile
s_lshl_b32 s[sgprStaggerUIter], s[sgprStaggerUIter], 2 // shift by StaggerUStride


/* SRDs += (StaggerUIter) * GlobalReadIncsA+0 */
s_mul_hi_u32 s65, s[sgprStaggerUIter], s[sgprGlobalReadIncsA+0] //  stagger byte offset
s_mul_i32 s64, s[sgprStaggerUIter], s[sgprGlobalReadIncsA+0] //  stagger byte offset
s_mul_hi_u32 s[sgprWrapUA+1], s[sgprLoopCounterL], s[sgprGlobalReadIncsA+0] // Number of bytes accessed by the unroll loop
s_mul_i32 s[sgprWrapUA+0], s[sgprLoopCounterL], s[sgprGlobalReadIncsA+0] // Number of bytes accessed by the unroll loop
s_sub_u32 s[sgprWrapUA+0], s[sgprGlobalReadIncsA+0], s[sgprWrapUA+0] // remove one iteration
s_subb_u32 s[sgprWrapUA+1], 0, s[sgprWrapUA+1]     // remove one iteration
s_add_u32 s[sgprSrdA+0], s[sgprSrdA+0], s64        // gra SRD += inc(lower)
s_addc_u32  s[sgprSrdA+1], s[sgprSrdA+1], s65      // gra SRD += inc(upper)
s_sub_u32 s[sgprShadowLimitA+0], s[sgprShadowLimitA+0], s64 // limit -= inc)
s_subb_u32 s[sgprShadowLimitA+1], s[sgprShadowLimitA+1], s65 // limit -= inc)
s_cmp_eq_u32 s[sgprShadowLimitA+1], 0              // are we within 2^32?
s_cselect_b32 s[sgprSrdA+2], s[sgprShadowLimitA+0], BufferLimitA // Move shadow to real if we are within 2^32


/* SRDs += (StaggerUIter) * GlobalReadIncsB+0 */
s_mul_hi_u32 s65, s[sgprStaggerUIter], s[sgprGlobalReadIncsB+0] //  stagger byte offset
s_mul_i32 s64, s[sgprStaggerUIter], s[sgprGlobalReadIncsB+0] //  stagger byte offset
s_mul_hi_u32 s[sgprWrapUB+1], s[sgprLoopCounterL], s[sgprGlobalReadIncsB+0] // Number of bytes accessed by the unroll loop
s_mul_i32 s[sgprWrapUB+0], s[sgprLoopCounterL], s[sgprGlobalReadIncsB+0] // Number of bytes accessed by the unroll loop
s_sub_u32 s[sgprWrapUB+0], s[sgprGlobalReadIncsB+0], s[sgprWrapUB+0] // remove one iteration
s_subb_u32 s[sgprWrapUB+1], 0, s[sgprWrapUB+1]     // remove one iteration
s_add_u32 s[sgprSrdB+0], s[sgprSrdB+0], s64        // gra SRD += inc(lower)
s_addc_u32  s[sgprSrdB+1], s[sgprSrdB+1], s65      // gra SRD += inc(upper)
s_sub_u32 s[sgprShadowLimitB+0], s[sgprShadowLimitB+0], s64 // limit -= inc)
s_subb_u32 s[sgprShadowLimitB+1], s[sgprShadowLimitB+1], s65 // limit -= inc)
s_cmp_eq_u32 s[sgprShadowLimitB+1], 0              // are we within 2^32?
s_cselect_b32 s[sgprSrdB+2], s[sgprShadowLimitB+0], BufferLimitB // Move shadow to real if we are within 2^32
s_add_u32 s[sgprStaggerUIter], s[sgprStaggerUIter], 2 // Subtract (PGR-1); StaggerUIter now contains target iteration to wrap

/* local read addresses: init pointers a */


/* localReadInitPointers */

/* local read addresses: init pointers b */


/* localReadInitPointers */


/* prefetch: global -> local */

s_cmp_eq_u32 s[sgprLoopCounterL], 0                // at last iteration?
s_cbranch_scc1 ShadowInitStart_10                  // skip to ShadowInitStart iter b/c numIter==0


_buffer_load_b64 v[vgprG2LA+0:vgprG2LA+0+1], v[vgprGlobalReadOffsetA+0], s[sgprSrdA:sgprSrdA+3], 0, offen offset:0 // G -> Reg 0_0_0_0
_buffer_load_b64 v[vgprG2LA+2:vgprG2LA+2+1], v[vgprGlobalReadOffsetA+1], s[sgprSrdA:sgprSrdA+3], 0, offen offset:0 // G -> Reg 1_0_0_0
_buffer_load_b64 v[vgprG2LA+4:vgprG2LA+4+1], v[vgprGlobalReadOffsetA+2], s[sgprSrdA:sgprSrdA+3], 0, offen offset:0 // G -> Reg 2_0_0_0
_buffer_load_b64 v[vgprG2LA+6:vgprG2LA+6+1], v[vgprGlobalReadOffsetA+3], s[sgprSrdA:sgprSrdA+3], 0, offen offset:0 // G -> Reg 3_0_0_0
_buffer_load_b64 v[vgprG2LA+8:vgprG2LA+8+1], v[vgprGlobalReadOffsetA+4], s[sgprSrdA:sgprSrdA+3], 0, offen offset:0 // G -> Reg 4_0_0_0


_buffer_load_b64 v[vgprG2LB+0:vgprG2LB+0+1], v[vgprGlobalReadOffsetB+0], s[sgprSrdB:sgprSrdB+3], 0, offen offset:0 // G -> Reg 0_0_0_0
_buffer_load_b64 v[vgprG2LB+2:vgprG2LB+2+1], v[vgprGlobalReadOffsetB+1], s[sgprSrdB:sgprSrdB+3], 0, offen offset:0 // G -> Reg 0_0_1_0
_buffer_load_b64 v[vgprG2LB+4:vgprG2LB+4+1], v[vgprGlobalReadOffsetB+2], s[sgprSrdB:sgprSrdB+3], 0, offen offset:0 // G -> Reg 0_0_2_0
_buffer_load_b64 v[vgprG2LB+6:vgprG2LB+6+1], v[vgprGlobalReadOffsetB+3], s[sgprSrdB:sgprSrdB+3], 0, offen offset:0 // G -> Reg 0_0_3_0


/* global read inc A loopL */
s_add_u32 s66, s[sgprLoopCounterL], 1              // remove pf(1)
s_cmp_eq_u32 s[sgprStaggerUIter], s66              // Is this wrapIter? (pf)
s_cselect_b32 s64, s[sgprWrapUA+0], s[sgprGlobalReadIncsA+0] // incLower <- ?
s_cselect_b32 s65, s[sgprWrapUA+1], 0              // incUpper <- ?
s_add_u32 s[sgprSrdA+0], s[sgprSrdA+0], s64        // gra SRD += inc(lower)
s_addc_u32  s[sgprSrdA+1], s[sgprSrdA+1], s65      // gra SRD += inc(upper)
s_sub_u32 s[sgprShadowLimitA+0], s[sgprShadowLimitA+0], s64 // limit -= inc)
s_subb_u32 s[sgprShadowLimitA+1], s[sgprShadowLimitA+1], s65 // limit -= inc)
s_cmp_eq_u32 s[sgprShadowLimitA+1], 0              // are we within 2^32?
s_cselect_b32 s[sgprSrdA+2], s[sgprShadowLimitA+0], BufferLimitA // Move shadow to real if we are within 2^32

/* global read inc B loopL */
s_add_u32 s66, s[sgprLoopCounterL], 1              // remove pf(1)
s_cmp_eq_u32 s[sgprStaggerUIter], s66              // Is this wrapIter? (pf)
s_cselect_b32 s64, s[sgprWrapUB+0], s[sgprGlobalReadIncsB+0] // incLower <- ?
s_cselect_b32 s65, s[sgprWrapUB+1], 0              // incUpper <- ?
s_add_u32 s[sgprSrdB+0], s[sgprSrdB+0], s64        // gra SRD += inc(lower)
s_addc_u32  s[sgprSrdB+1], s[sgprSrdB+1], s65      // gra SRD += inc(upper)
s_sub_u32 s[sgprShadowLimitB+0], s[sgprShadowLimitB+0], s64 // limit -= inc)
s_subb_u32 s[sgprShadowLimitB+1], s[sgprShadowLimitB+1], s65 // limit -= inc)
s_cmp_eq_u32 s[sgprShadowLimitB+1], 0              // are we within 2^32?
s_cselect_b32 s[sgprSrdB+2], s[sgprShadowLimitB+0], BufferLimitB // Move shadow to real if we are within 2^32


/******************************************/
/* End setupNewTile, isPap=False             */
/******************************************/

ShadowInitStart_10: // 

s_mov_b32 s[sgprSrdD+2], BufferOOB                 // 
s_mov_b32 s[sgprSrdD+3], Srd127_96                 // Set bits 127_96 in post-loop SRD

s_mov_b32 s[sgprSrdC+2], BufferOOB                 // 
s_mov_b32 s[sgprSrdC+3], Srd127_96                 // Set bits 127_96 in post-loop SRD


s_mul_i32 s66, MT1, s[sgprWorkGroup1]              // <- wg1*MT1
s_mul_hi_u32 s65, s66, s[sgprStrideC1J]            // CScale s66 by Stride
s_mul_i32 s64, s66, s[sgprStrideC1J]               // CScale s66 by Stride
s_lshl_b64 s[64:65], s[64:65], 2                   // scale by bpe
s_add_u32 s[sgprSrdC+0], s[sgprSrdC+0], s64        // add lo to SRD
s_addc_u32 s[sgprSrdC+1], s[sgprSrdC+1], s65       // add hi to SRD
s_mul_hi_u32 s65, s66, s[sgprStrideD1J]            // Scale s66 by Stride
s_mul_i32 s64, s66, s[sgprStrideD1J]               // Scale s66 by Stride
s_lshl_b64 s[64:65], s[64:65], 2                   // scale by bpe
s_add_u32 s[sgprSrdD+0], s[sgprSrdD+0], s64        // add lo to SRD
s_addc_u32 s[sgprSrdD+1], s[sgprSrdD+1], s65       // add hi to SRD

s_mul_hi_u32 s65, s[sgprWorkGroup2], s[sgprStrideCK] // CScale s[sgprWorkGroup2] by Stride
s_mul_i32 s64, s[sgprWorkGroup2], s[sgprStrideCK]  // CScale s[sgprWorkGroup2] by Stride
s_lshl_b64 s[64:65], s[64:65], 2                   // scale by bpe
s_add_u32 s[sgprSrdC+0], s[sgprSrdC+0], s64        // add lo to SRD
s_addc_u32 s[sgprSrdC+1], s[sgprSrdC+1], s65       // add hi to SRD
s_mul_hi_u32 s65, s[sgprWorkGroup2], s[sgprStrideDK] // Scale s[sgprWorkGroup2] by Stride
s_mul_i32 s64, s[sgprWorkGroup2], s[sgprStrideDK]  // Scale s[sgprWorkGroup2] by Stride
s_lshl_b64 s[64:65], s[64:65], 2                   // scale by bpe
s_add_u32 s[sgprSrdD+0], s[sgprSrdD+0], s64        // add lo to SRD
s_addc_u32 s[sgprSrdD+1], s[sgprSrdD+1], s65       // add hi to SRD

// GSU Output Buffer offset: Free0 + (Free1-1)*StrideC1J + (Free2-1)*StrideCK * GSUIdx * bpe
s_mul_hi_u32 s11, s[sgprSizesFree+0], s[sgprGSUSumIdx] // Free0
s_mul_i32 s10, s[sgprSizesFree+0], s[sgprGSUSumIdx] // Free0
s_sub_u32 s61, s[sgprSizesFree+1], 1               // Free1
s_mul_i32 s61, s61, s[sgprGSUSumIdx]               // Free1
s_mul_hi_u32 s69, s61, s[sgprStrideC1J]            // Free1
s_mul_i32 s68, s61, s[sgprStrideC1J]               // Free1
s_add_u32 s10, s10, s68                            // Free1
s_addc_u32 s11, s11, s69                           // Free1
s_sub_u32 s61, s[sgprSizesFree+2], 1               // Free2
s_mul_i32 s61, s61, s[sgprGSUSumIdx]               // Free2
s_mul_hi_u32 s69, s61, s[sgprStrideCK]             // Free2
s_mul_i32 s68, s61, s[sgprStrideCK]                // Free2
s_add_u32 s10, s10, s68                            // Free2
s_addc_u32 s11, s11, s69                           // Free2
s_lshl_b64 s[10:11], s[10:11], 2                   // scale by bpe
s_add_u32 s[sgprSrdD+0], s[sgprSrdD+0], s10        // add lo GSU offset to SRD
s_addc_u32 s[sgprSrdD+1], s[sgprSrdD+1], s11       // add hi GSU offset to SRD


/* initC: remove C-tile 0-0 from pool */

/* initC: remove AB-tile 0-48 from pool */
v_accvgpr_write acc0, 0x0                          // initC
v_accvgpr_write acc1, 0x0                          // initC
v_accvgpr_write acc2, 0x0                          // initC
v_accvgpr_write acc3, 0x0                          // initC
v_accvgpr_write acc4, 0x0                          // initC
v_accvgpr_write acc5, 0x0                          // initC
v_accvgpr_write acc6, 0x0                          // initC
v_accvgpr_write acc7, 0x0                          // initC
v_accvgpr_write acc8, 0x0                          // initC
v_accvgpr_write acc9, 0x0                          // initC
v_accvgpr_write acc10, 0x0                         // initC
v_accvgpr_write acc11, 0x0                         // initC
v_accvgpr_write acc12, 0x0                         // initC
v_accvgpr_write acc13, 0x0                         // initC
v_accvgpr_write acc14, 0x0                         // initC
v_accvgpr_write acc15, 0x0                         // initC
v_accvgpr_write acc16, 0x0                         // initC
v_accvgpr_write acc17, 0x0                         // initC
v_accvgpr_write acc18, 0x0                         // initC
v_accvgpr_write acc19, 0x0                         // initC
v_accvgpr_write acc20, 0x0                         // initC
v_accvgpr_write acc21, 0x0                         // initC
v_accvgpr_write acc22, 0x0                         // initC
v_accvgpr_write acc23, 0x0                         // initC
v_accvgpr_write acc24, 0x0                         // initC
v_accvgpr_write acc25, 0x0                         // initC
v_accvgpr_write acc26, 0x0                         // initC
v_accvgpr_write acc27, 0x0                         // initC
v_accvgpr_write acc28, 0x0                         // initC
v_accvgpr_write acc29, 0x0                         // initC
v_accvgpr_write acc30, 0x0                         // initC
v_accvgpr_write acc31, 0x0                         // initC
v_accvgpr_write acc32, 0x0                         // initC
v_accvgpr_write acc33, 0x0                         // initC
v_accvgpr_write acc34, 0x0                         // initC
v_accvgpr_write acc35, 0x0                         // initC
v_accvgpr_write acc36, 0x0                         // initC
v_accvgpr_write acc37, 0x0                         // initC
v_accvgpr_write acc38, 0x0                         // initC
v_accvgpr_write acc39, 0x0                         // initC
v_accvgpr_write acc40, 0x0                         // initC
v_accvgpr_write acc41, 0x0                         // initC
v_accvgpr_write acc42, 0x0                         // initC
v_accvgpr_write acc43, 0x0                         // initC
v_accvgpr_write acc44, 0x0                         // initC
v_accvgpr_write acc45, 0x0                         // initC
v_accvgpr_write acc46, 0x0                         // initC
v_accvgpr_write acc47, 0x0                         // initC
v_accvgpr_write acc48, 0x0                         // initC
v_accvgpr_write acc49, 0x0                         // initC
v_accvgpr_write acc50, 0x0                         // initC
v_accvgpr_write acc51, 0x0                         // initC
v_accvgpr_write acc52, 0x0                         // initC
v_accvgpr_write acc53, 0x0                         // initC
v_accvgpr_write acc54, 0x0                         // initC
v_accvgpr_write acc55, 0x0                         // initC
v_accvgpr_write acc56, 0x0                         // initC
v_accvgpr_write acc57, 0x0                         // initC
v_accvgpr_write acc58, 0x0                         // initC
v_accvgpr_write acc59, 0x0                         // initC
v_accvgpr_write acc60, 0x0                         // initC
v_accvgpr_write acc61, 0x0                         // initC
v_accvgpr_write acc62, 0x0                         // initC
v_accvgpr_write acc63, 0x0                         // initC
v_accvgpr_write acc64, 0x0                         // initC
v_accvgpr_write acc65, 0x0                         // initC
v_accvgpr_write acc66, 0x0                         // initC
v_accvgpr_write acc67, 0x0                         // initC
v_accvgpr_write acc68, 0x0                         // initC
v_accvgpr_write acc69, 0x0                         // initC
v_accvgpr_write acc70, 0x0                         // initC
v_accvgpr_write acc71, 0x0                         // initC
v_accvgpr_write acc72, 0x0                         // initC
v_accvgpr_write acc73, 0x0                         // initC
v_accvgpr_write acc74, 0x0                         // initC
v_accvgpr_write acc75, 0x0                         // initC
v_accvgpr_write acc76, 0x0                         // initC
v_accvgpr_write acc77, 0x0                         // initC
v_accvgpr_write acc78, 0x0                         // initC
v_accvgpr_write acc79, 0x0                         // initC

s_cmp_eq_u32 s[sgprLoopCounterL], 0                // at last iteration?

/* after InitC, skip to end of prefetch last iter if numIter==0 */
s_cbranch_scc0 label_NoBranch_11                   // Only branch on scc1
s_getpc_B64 s[64:65]                               // addr of next instr
s_add_i32 s66, PrefetchGlobalLastIterEnd_5, 0x4    // target branch offset
s_add_u32 s64, s64, s66                            // add target branch offset
s_addc_u32 s65, s65, 0                             // add high and carry
s_setpc_b64 s[64:65]                               // branch to PrefetchGlobalLastIterEnd_5
label_NoBranch_11:

s_waitcnt vmcnt(0)                                 // lgkmcnt=-1 vmcnt=0 8wait for global read


/* local write a */
v_cvt_f32_f16 v[vgprG2Lpipe0], v[vgprG2LA+0]       // 
v_cmp_u_f32 s[sgprFp16AltNanCheck:sgprFp16AltNanCheck+1], v[vgprG2Lpipe0], v[vgprG2Lpipe0] // check NaN
v_add_u32 v[vgprFp16AltTmp], s[sgprFp16AltOffset], v[vgprG2Lpipe0] // 
v_cndmask_b32 v[vgprG2Lpipe0], v[vgprFp16AltTmp], v[vgprG2Lpipe0], s[sgprFp16AltNanCheck:sgprFp16AltNanCheck+1] // 
v_cvt_f32_f16 v[vgprG2Lpipe1], v[vgprG2LA+0], src0_sel:WORD_1 // 
v_cmp_u_f32 s[sgprFp16AltNanCheck:sgprFp16AltNanCheck+1], v[vgprG2Lpipe1], v[vgprG2Lpipe1] // check NaN
v_add_u32 v[vgprFp16AltTmp], s[sgprFp16AltOffset], v[vgprG2Lpipe1] // 
v_cndmask_b32 v[vgprG2Lpipe1], v[vgprFp16AltTmp], v[vgprG2Lpipe1], s[sgprFp16AltNanCheck:sgprFp16AltNanCheck+1] // 
v_pack_b32_f16 v[vgprG2LA+0], v[vgprG2Lpipe0], v[vgprG2Lpipe1], op_sel:[1,1,0] // 
v_cvt_f32_f16 v[vgprG2Lpipe0], v[vgprG2LA+1]       // 
v_cmp_u_f32 s[sgprFp16AltNanCheck:sgprFp16AltNanCheck+1], v[vgprG2Lpipe0], v[vgprG2Lpipe0] // check NaN
v_add_u32 v[vgprFp16AltTmp], s[sgprFp16AltOffset], v[vgprG2Lpipe0] // 
v_cndmask_b32 v[vgprG2Lpipe0], v[vgprFp16AltTmp], v[vgprG2Lpipe0], s[sgprFp16AltNanCheck:sgprFp16AltNanCheck+1] // 
v_cvt_f32_f16 v[vgprG2Lpipe1], v[vgprG2LA+1], src0_sel:WORD_1 // 
v_cmp_u_f32 s[sgprFp16AltNanCheck:sgprFp16AltNanCheck+1], v[vgprG2Lpipe1], v[vgprG2Lpipe1] // check NaN
v_add_u32 v[vgprFp16AltTmp], s[sgprFp16AltOffset], v[vgprG2Lpipe1] // 
v_cndmask_b32 v[vgprG2Lpipe1], v[vgprFp16AltTmp], v[vgprG2Lpipe1], s[sgprFp16AltNanCheck:sgprFp16AltNanCheck+1] // 
v_pack_b32_f16 v[vgprG2LA+1], v[vgprG2Lpipe0], v[vgprG2Lpipe1], op_sel:[1,1,0] // 
_ds_store_b64 v[vgprLocalWriteAddrA], v[vgprG2LA+0:vgprG2LA+0+1] offset:0 // lwoA_0_0_0_0 = (0*LSCA) + (0*LSPA)(*MT0I+PAD) = 0
v_cvt_f32_f16 v[vgprG2Lpipe0], v[vgprG2LA+2]       // 
v_cmp_u_f32 s[sgprFp16AltNanCheck:sgprFp16AltNanCheck+1], v[vgprG2Lpipe0], v[vgprG2Lpipe0] // check NaN
v_add_u32 v[vgprFp16AltTmp], s[sgprFp16AltOffset], v[vgprG2Lpipe0] // 
v_cndmask_b32 v[vgprG2Lpipe0], v[vgprFp16AltTmp], v[vgprG2Lpipe0], s[sgprFp16AltNanCheck:sgprFp16AltNanCheck+1] // 
v_cvt_f32_f16 v[vgprG2Lpipe1], v[vgprG2LA+2], src0_sel:WORD_1 // 
v_cmp_u_f32 s[sgprFp16AltNanCheck:sgprFp16AltNanCheck+1], v[vgprG2Lpipe1], v[vgprG2Lpipe1] // check NaN
v_add_u32 v[vgprFp16AltTmp], s[sgprFp16AltOffset], v[vgprG2Lpipe1] // 
v_cndmask_b32 v[vgprG2Lpipe1], v[vgprFp16AltTmp], v[vgprG2Lpipe1], s[sgprFp16AltNanCheck:sgprFp16AltNanCheck+1] // 
v_pack_b32_f16 v[vgprG2LA+2], v[vgprG2Lpipe0], v[vgprG2Lpipe1], op_sel:[1,1,0] // 
v_cvt_f32_f16 v[vgprG2Lpipe0], v[vgprG2LA+3]       // 
v_cmp_u_f32 s[sgprFp16AltNanCheck:sgprFp16AltNanCheck+1], v[vgprG2Lpipe0], v[vgprG2Lpipe0] // check NaN
v_add_u32 v[vgprFp16AltTmp], s[sgprFp16AltOffset], v[vgprG2Lpipe0] // 
v_cndmask_b32 v[vgprG2Lpipe0], v[vgprFp16AltTmp], v[vgprG2Lpipe0], s[sgprFp16AltNanCheck:sgprFp16AltNanCheck+1] // 
v_cvt_f32_f16 v[vgprG2Lpipe1], v[vgprG2LA+3], src0_sel:WORD_1 // 
v_cmp_u_f32 s[sgprFp16AltNanCheck:sgprFp16AltNanCheck+1], v[vgprG2Lpipe1], v[vgprG2Lpipe1] // check NaN
v_add_u32 v[vgprFp16AltTmp], s[sgprFp16AltOffset], v[vgprG2Lpipe1] // 
v_cndmask_b32 v[vgprG2Lpipe1], v[vgprFp16AltTmp], v[vgprG2Lpipe1], s[sgprFp16AltNanCheck:sgprFp16AltNanCheck+1] // 
v_pack_b32_f16 v[vgprG2LA+3], v[vgprG2Lpipe0], v[vgprG2Lpipe1], op_sel:[1,1,0] // 
_ds_store_b64 v[vgprLocalWriteAddrA], v[vgprG2LA+2:vgprG2LA+2+1] offset:64 // lwoA_1_0_0_0 = (1*LSCA) + (0*LSPA)(*MT0I+PAD) = 64
v_cvt_f32_f16 v[vgprG2Lpipe0], v[vgprG2LA+4]       // 
v_cmp_u_f32 s[sgprFp16AltNanCheck:sgprFp16AltNanCheck+1], v[vgprG2Lpipe0], v[vgprG2Lpipe0] // check NaN
v_add_u32 v[vgprFp16AltTmp], s[sgprFp16AltOffset], v[vgprG2Lpipe0] // 
v_cndmask_b32 v[vgprG2Lpipe0], v[vgprFp16AltTmp], v[vgprG2Lpipe0], s[sgprFp16AltNanCheck:sgprFp16AltNanCheck+1] // 
v_cvt_f32_f16 v[vgprG2Lpipe1], v[vgprG2LA+4], src0_sel:WORD_1 // 
v_cmp_u_f32 s[sgprFp16AltNanCheck:sgprFp16AltNanCheck+1], v[vgprG2Lpipe1], v[vgprG2Lpipe1] // check NaN
v_add_u32 v[vgprFp16AltTmp], s[sgprFp16AltOffset], v[vgprG2Lpipe1] // 
v_cndmask_b32 v[vgprG2Lpipe1], v[vgprFp16AltTmp], v[vgprG2Lpipe1], s[sgprFp16AltNanCheck:sgprFp16AltNanCheck+1] // 
v_pack_b32_f16 v[vgprG2LA+4], v[vgprG2Lpipe0], v[vgprG2Lpipe1], op_sel:[1,1,0] // 
v_cvt_f32_f16 v[vgprG2Lpipe0], v[vgprG2LA+5]       // 
v_cmp_u_f32 s[sgprFp16AltNanCheck:sgprFp16AltNanCheck+1], v[vgprG2Lpipe0], v[vgprG2Lpipe0] // check NaN
v_add_u32 v[vgprFp16AltTmp], s[sgprFp16AltOffset], v[vgprG2Lpipe0] // 
v_cndmask_b32 v[vgprG2Lpipe0], v[vgprFp16AltTmp], v[vgprG2Lpipe0], s[sgprFp16AltNanCheck:sgprFp16AltNanCheck+1] // 
v_cvt_f32_f16 v[vgprG2Lpipe1], v[vgprG2LA+5], src0_sel:WORD_1 // 
v_cmp_u_f32 s[sgprFp16AltNanCheck:sgprFp16AltNanCheck+1], v[vgprG2Lpipe1], v[vgprG2Lpipe1] // check NaN
v_add_u32 v[vgprFp16AltTmp], s[sgprFp16AltOffset], v[vgprG2Lpipe1] // 
v_cndmask_b32 v[vgprG2Lpipe1], v[vgprFp16AltTmp], v[vgprG2Lpipe1], s[sgprFp16AltNanCheck:sgprFp16AltNanCheck+1] // 
v_pack_b32_f16 v[vgprG2LA+5], v[vgprG2Lpipe0], v[vgprG2Lpipe1], op_sel:[1,1,0] // 
_ds_store_b64 v[vgprLocalWriteAddrA], v[vgprG2LA+4:vgprG2LA+4+1] offset:128 // lwoA_2_0_0_0 = (2*LSCA) + (0*LSPA)(*MT0I+PAD) = 128
v_cvt_f32_f16 v[vgprG2Lpipe0], v[vgprG2LA+6]       // 
v_cmp_u_f32 s[sgprFp16AltNanCheck:sgprFp16AltNanCheck+1], v[vgprG2Lpipe0], v[vgprG2Lpipe0] // check NaN
v_add_u32 v[vgprFp16AltTmp], s[sgprFp16AltOffset], v[vgprG2Lpipe0] // 
v_cndmask_b32 v[vgprG2Lpipe0], v[vgprFp16AltTmp], v[vgprG2Lpipe0], s[sgprFp16AltNanCheck:sgprFp16AltNanCheck+1] // 
v_cvt_f32_f16 v[vgprG2Lpipe1], v[vgprG2LA+6], src0_sel:WORD_1 // 
v_cmp_u_f32 s[sgprFp16AltNanCheck:sgprFp16AltNanCheck+1], v[vgprG2Lpipe1], v[vgprG2Lpipe1] // check NaN
v_add_u32 v[vgprFp16AltTmp], s[sgprFp16AltOffset], v[vgprG2Lpipe1] // 
v_cndmask_b32 v[vgprG2Lpipe1], v[vgprFp16AltTmp], v[vgprG2Lpipe1], s[sgprFp16AltNanCheck:sgprFp16AltNanCheck+1] // 
v_pack_b32_f16 v[vgprG2LA+6], v[vgprG2Lpipe0], v[vgprG2Lpipe1], op_sel:[1,1,0] // 
v_cvt_f32_f16 v[vgprG2Lpipe0], v[vgprG2LA+7]       // 
v_cmp_u_f32 s[sgprFp16AltNanCheck:sgprFp16AltNanCheck+1], v[vgprG2Lpipe0], v[vgprG2Lpipe0] // check NaN
v_add_u32 v[vgprFp16AltTmp], s[sgprFp16AltOffset], v[vgprG2Lpipe0] // 
v_cndmask_b32 v[vgprG2Lpipe0], v[vgprFp16AltTmp], v[vgprG2Lpipe0], s[sgprFp16AltNanCheck:sgprFp16AltNanCheck+1] // 
v_cvt_f32_f16 v[vgprG2Lpipe1], v[vgprG2LA+7], src0_sel:WORD_1 // 
v_cmp_u_f32 s[sgprFp16AltNanCheck:sgprFp16AltNanCheck+1], v[vgprG2Lpipe1], v[vgprG2Lpipe1] // check NaN
v_add_u32 v[vgprFp16AltTmp], s[sgprFp16AltOffset], v[vgprG2Lpipe1] // 
v_cndmask_b32 v[vgprG2Lpipe1], v[vgprFp16AltTmp], v[vgprG2Lpipe1], s[sgprFp16AltNanCheck:sgprFp16AltNanCheck+1] // 
v_pack_b32_f16 v[vgprG2LA+7], v[vgprG2Lpipe0], v[vgprG2Lpipe1], op_sel:[1,1,0] // 
_ds_store_b64 v[vgprLocalWriteAddrA], v[vgprG2LA+6:vgprG2LA+6+1] offset:192 // lwoA_3_0_0_0 = (3*LSCA) + (0*LSPA)(*MT0I+PAD) = 192
v_cvt_f32_f16 v[vgprG2Lpipe0], v[vgprG2LA+8]       // 
v_cmp_u_f32 s[sgprFp16AltNanCheck:sgprFp16AltNanCheck+1], v[vgprG2Lpipe0], v[vgprG2Lpipe0] // check NaN
v_add_u32 v[vgprFp16AltTmp], s[sgprFp16AltOffset], v[vgprG2Lpipe0] // 
v_cndmask_b32 v[vgprG2Lpipe0], v[vgprFp16AltTmp], v[vgprG2Lpipe0], s[sgprFp16AltNanCheck:sgprFp16AltNanCheck+1] // 
v_cvt_f32_f16 v[vgprG2Lpipe1], v[vgprG2LA+8], src0_sel:WORD_1 // 
v_cmp_u_f32 s[sgprFp16AltNanCheck:sgprFp16AltNanCheck+1], v[vgprG2Lpipe1], v[vgprG2Lpipe1] // check NaN
v_add_u32 v[vgprFp16AltTmp], s[sgprFp16AltOffset], v[vgprG2Lpipe1] // 
v_cndmask_b32 v[vgprG2Lpipe1], v[vgprFp16AltTmp], v[vgprG2Lpipe1], s[sgprFp16AltNanCheck:sgprFp16AltNanCheck+1] // 
v_pack_b32_f16 v[vgprG2LA+8], v[vgprG2Lpipe0], v[vgprG2Lpipe1], op_sel:[1,1,0] // 
v_cvt_f32_f16 v[vgprG2Lpipe0], v[vgprG2LA+9]       // 
v_cmp_u_f32 s[sgprFp16AltNanCheck:sgprFp16AltNanCheck+1], v[vgprG2Lpipe0], v[vgprG2Lpipe0] // check NaN
v_add_u32 v[vgprFp16AltTmp], s[sgprFp16AltOffset], v[vgprG2Lpipe0] // 
v_cndmask_b32 v[vgprG2Lpipe0], v[vgprFp16AltTmp], v[vgprG2Lpipe0], s[sgprFp16AltNanCheck:sgprFp16AltNanCheck+1] // 
v_cvt_f32_f16 v[vgprG2Lpipe1], v[vgprG2LA+9], src0_sel:WORD_1 // 
v_cmp_u_f32 s[sgprFp16AltNanCheck:sgprFp16AltNanCheck+1], v[vgprG2Lpipe1], v[vgprG2Lpipe1] // check NaN
v_add_u32 v[vgprFp16AltTmp], s[sgprFp16AltOffset], v[vgprG2Lpipe1] // 
v_cndmask_b32 v[vgprG2Lpipe1], v[vgprFp16AltTmp], v[vgprG2Lpipe1], s[sgprFp16AltNanCheck:sgprFp16AltNanCheck+1] // 
v_pack_b32_f16 v[vgprG2LA+9], v[vgprG2Lpipe0], v[vgprG2Lpipe1], op_sel:[1,1,0] // 
_ds_store_b64 v[vgprLocalWriteAddrA], v[vgprG2LA+8:vgprG2LA+8+1] offset:256 // lwoA_4_0_0_0 = (4*LSCA) + (0*LSPA)(*MT0I+PAD) = 256

/* local write b */
v_cvt_f32_f16 v[vgprG2Lpipe0], v[vgprG2LB+0]       // 
v_cmp_u_f32 s[sgprFp16AltNanCheck:sgprFp16AltNanCheck+1], v[vgprG2Lpipe0], v[vgprG2Lpipe0] // check NaN
v_add_u32 v[vgprFp16AltTmp], s[sgprFp16AltOffset], v[vgprG2Lpipe0] // 
v_cndmask_b32 v[vgprG2Lpipe0], v[vgprFp16AltTmp], v[vgprG2Lpipe0], s[sgprFp16AltNanCheck:sgprFp16AltNanCheck+1] // 
v_cvt_f32_f16 v[vgprG2Lpipe1], v[vgprG2LB+0], src0_sel:WORD_1 // 
v_cmp_u_f32 s[sgprFp16AltNanCheck:sgprFp16AltNanCheck+1], v[vgprG2Lpipe1], v[vgprG2Lpipe1] // check NaN
v_add_u32 v[vgprFp16AltTmp], s[sgprFp16AltOffset], v[vgprG2Lpipe1] // 
v_cndmask_b32 v[vgprG2Lpipe1], v[vgprFp16AltTmp], v[vgprG2Lpipe1], s[sgprFp16AltNanCheck:sgprFp16AltNanCheck+1] // 
v_pack_b32_f16 v[vgprG2LB+0], v[vgprG2Lpipe0], v[vgprG2Lpipe1], op_sel:[1,1,0] // 
v_cvt_f32_f16 v[vgprG2Lpipe0], v[vgprG2LB+1]       // 
v_cmp_u_f32 s[sgprFp16AltNanCheck:sgprFp16AltNanCheck+1], v[vgprG2Lpipe0], v[vgprG2Lpipe0] // check NaN
v_add_u32 v[vgprFp16AltTmp], s[sgprFp16AltOffset], v[vgprG2Lpipe0] // 
v_cndmask_b32 v[vgprG2Lpipe0], v[vgprFp16AltTmp], v[vgprG2Lpipe0], s[sgprFp16AltNanCheck:sgprFp16AltNanCheck+1] // 
v_cvt_f32_f16 v[vgprG2Lpipe1], v[vgprG2LB+1], src0_sel:WORD_1 // 
v_cmp_u_f32 s[sgprFp16AltNanCheck:sgprFp16AltNanCheck+1], v[vgprG2Lpipe1], v[vgprG2Lpipe1] // check NaN
v_add_u32 v[vgprFp16AltTmp], s[sgprFp16AltOffset], v[vgprG2Lpipe1] // 
v_cndmask_b32 v[vgprG2Lpipe1], v[vgprFp16AltTmp], v[vgprG2Lpipe1], s[sgprFp16AltNanCheck:sgprFp16AltNanCheck+1] // 
v_pack_b32_f16 v[vgprG2LB+1], v[vgprG2Lpipe0], v[vgprG2Lpipe1], op_sel:[1,1,0] // 
_ds_store_b64 v[vgprLocalWriteAddrB], v[vgprG2LB+0:vgprG2LB+0+1] offset:0 // lwoB_0_0_0_0 = (0*LSCB)*(MT1J+PAD) + (0*LSPB) = 0
v_cvt_f32_f16 v[vgprG2Lpipe0], v[vgprG2LB+2]       // 
v_cmp_u_f32 s[sgprFp16AltNanCheck:sgprFp16AltNanCheck+1], v[vgprG2Lpipe0], v[vgprG2Lpipe0] // check NaN
v_add_u32 v[vgprFp16AltTmp], s[sgprFp16AltOffset], v[vgprG2Lpipe0] // 
v_cndmask_b32 v[vgprG2Lpipe0], v[vgprFp16AltTmp], v[vgprG2Lpipe0], s[sgprFp16AltNanCheck:sgprFp16AltNanCheck+1] // 
v_cvt_f32_f16 v[vgprG2Lpipe1], v[vgprG2LB+2], src0_sel:WORD_1 // 
v_cmp_u_f32 s[sgprFp16AltNanCheck:sgprFp16AltNanCheck+1], v[vgprG2Lpipe1], v[vgprG2Lpipe1] // check NaN
v_add_u32 v[vgprFp16AltTmp], s[sgprFp16AltOffset], v[vgprG2Lpipe1] // 
v_cndmask_b32 v[vgprG2Lpipe1], v[vgprFp16AltTmp], v[vgprG2Lpipe1], s[sgprFp16AltNanCheck:sgprFp16AltNanCheck+1] // 
v_pack_b32_f16 v[vgprG2LB+2], v[vgprG2Lpipe0], v[vgprG2Lpipe1], op_sel:[1,1,0] // 
v_cvt_f32_f16 v[vgprG2Lpipe0], v[vgprG2LB+3]       // 
v_cmp_u_f32 s[sgprFp16AltNanCheck:sgprFp16AltNanCheck+1], v[vgprG2Lpipe0], v[vgprG2Lpipe0] // check NaN
v_add_u32 v[vgprFp16AltTmp], s[sgprFp16AltOffset], v[vgprG2Lpipe0] // 
v_cndmask_b32 v[vgprG2Lpipe0], v[vgprFp16AltTmp], v[vgprG2Lpipe0], s[sgprFp16AltNanCheck:sgprFp16AltNanCheck+1] // 
v_cvt_f32_f16 v[vgprG2Lpipe1], v[vgprG2LB+3], src0_sel:WORD_1 // 
v_cmp_u_f32 s[sgprFp16AltNanCheck:sgprFp16AltNanCheck+1], v[vgprG2Lpipe1], v[vgprG2Lpipe1] // check NaN
v_add_u32 v[vgprFp16AltTmp], s[sgprFp16AltOffset], v[vgprG2Lpipe1] // 
v_cndmask_b32 v[vgprG2Lpipe1], v[vgprFp16AltTmp], v[vgprG2Lpipe1], s[sgprFp16AltNanCheck:sgprFp16AltNanCheck+1] // 
v_pack_b32_f16 v[vgprG2LB+3], v[vgprG2Lpipe0], v[vgprG2Lpipe1], op_sel:[1,1,0] // 
_ds_store_b64 v[vgprLocalWriteAddrB], v[vgprG2LB+2:vgprG2LB+2+1] offset:576 // lwoB_0_0_1_0 = (0*LSCB)*(MT1J+PAD) + (1*LSPB) = 576
v_cvt_f32_f16 v[vgprG2Lpipe0], v[vgprG2LB+4]       // 
v_cmp_u_f32 s[sgprFp16AltNanCheck:sgprFp16AltNanCheck+1], v[vgprG2Lpipe0], v[vgprG2Lpipe0] // check NaN
v_add_u32 v[vgprFp16AltTmp], s[sgprFp16AltOffset], v[vgprG2Lpipe0] // 
v_cndmask_b32 v[vgprG2Lpipe0], v[vgprFp16AltTmp], v[vgprG2Lpipe0], s[sgprFp16AltNanCheck:sgprFp16AltNanCheck+1] // 
v_cvt_f32_f16 v[vgprG2Lpipe1], v[vgprG2LB+4], src0_sel:WORD_1 // 
v_cmp_u_f32 s[sgprFp16AltNanCheck:sgprFp16AltNanCheck+1], v[vgprG2Lpipe1], v[vgprG2Lpipe1] // check NaN
v_add_u32 v[vgprFp16AltTmp], s[sgprFp16AltOffset], v[vgprG2Lpipe1] // 
v_cndmask_b32 v[vgprG2Lpipe1], v[vgprFp16AltTmp], v[vgprG2Lpipe1], s[sgprFp16AltNanCheck:sgprFp16AltNanCheck+1] // 
v_pack_b32_f16 v[vgprG2LB+4], v[vgprG2Lpipe0], v[vgprG2Lpipe1], op_sel:[1,1,0] // 
v_cvt_f32_f16 v[vgprG2Lpipe0], v[vgprG2LB+5]       // 
v_cmp_u_f32 s[sgprFp16AltNanCheck:sgprFp16AltNanCheck+1], v[vgprG2Lpipe0], v[vgprG2Lpipe0] // check NaN
v_add_u32 v[vgprFp16AltTmp], s[sgprFp16AltOffset], v[vgprG2Lpipe0] // 
v_cndmask_b32 v[vgprG2Lpipe0], v[vgprFp16AltTmp], v[vgprG2Lpipe0], s[sgprFp16AltNanCheck:sgprFp16AltNanCheck+1] // 
v_cvt_f32_f16 v[vgprG2Lpipe1], v[vgprG2LB+5], src0_sel:WORD_1 // 
v_cmp_u_f32 s[sgprFp16AltNanCheck:sgprFp16AltNanCheck+1], v[vgprG2Lpipe1], v[vgprG2Lpipe1] // check NaN
v_add_u32 v[vgprFp16AltTmp], s[sgprFp16AltOffset], v[vgprG2Lpipe1] // 
v_cndmask_b32 v[vgprG2Lpipe1], v[vgprFp16AltTmp], v[vgprG2Lpipe1], s[sgprFp16AltNanCheck:sgprFp16AltNanCheck+1] // 
v_pack_b32_f16 v[vgprG2LB+5], v[vgprG2Lpipe0], v[vgprG2Lpipe1], op_sel:[1,1,0] // 
_ds_store_b64 v[vgprLocalWriteAddrB], v[vgprG2LB+4:vgprG2LB+4+1] offset:1152 // lwoB_0_0_2_0 = (0*LSCB)*(MT1J+PAD) + (2*LSPB) = 1152
v_cvt_f32_f16 v[vgprG2Lpipe0], v[vgprG2LB+6]       // 
v_cmp_u_f32 s[sgprFp16AltNanCheck:sgprFp16AltNanCheck+1], v[vgprG2Lpipe0], v[vgprG2Lpipe0] // check NaN
v_add_u32 v[vgprFp16AltTmp], s[sgprFp16AltOffset], v[vgprG2Lpipe0] // 
v_cndmask_b32 v[vgprG2Lpipe0], v[vgprFp16AltTmp], v[vgprG2Lpipe0], s[sgprFp16AltNanCheck:sgprFp16AltNanCheck+1] // 
v_cvt_f32_f16 v[vgprG2Lpipe1], v[vgprG2LB+6], src0_sel:WORD_1 // 
v_cmp_u_f32 s[sgprFp16AltNanCheck:sgprFp16AltNanCheck+1], v[vgprG2Lpipe1], v[vgprG2Lpipe1] // check NaN
v_add_u32 v[vgprFp16AltTmp], s[sgprFp16AltOffset], v[vgprG2Lpipe1] // 
v_cndmask_b32 v[vgprG2Lpipe1], v[vgprFp16AltTmp], v[vgprG2Lpipe1], s[sgprFp16AltNanCheck:sgprFp16AltNanCheck+1] // 
v_pack_b32_f16 v[vgprG2LB+6], v[vgprG2Lpipe0], v[vgprG2Lpipe1], op_sel:[1,1,0] // 
v_cvt_f32_f16 v[vgprG2Lpipe0], v[vgprG2LB+7]       // 
v_cmp_u_f32 s[sgprFp16AltNanCheck:sgprFp16AltNanCheck+1], v[vgprG2Lpipe0], v[vgprG2Lpipe0] // check NaN
v_add_u32 v[vgprFp16AltTmp], s[sgprFp16AltOffset], v[vgprG2Lpipe0] // 
v_cndmask_b32 v[vgprG2Lpipe0], v[vgprFp16AltTmp], v[vgprG2Lpipe0], s[sgprFp16AltNanCheck:sgprFp16AltNanCheck+1] // 
v_cvt_f32_f16 v[vgprG2Lpipe1], v[vgprG2LB+7], src0_sel:WORD_1 // 
v_cmp_u_f32 s[sgprFp16AltNanCheck:sgprFp16AltNanCheck+1], v[vgprG2Lpipe1], v[vgprG2Lpipe1] // check NaN
v_add_u32 v[vgprFp16AltTmp], s[sgprFp16AltOffset], v[vgprG2Lpipe1] // 
v_cndmask_b32 v[vgprG2Lpipe1], v[vgprFp16AltTmp], v[vgprG2Lpipe1], s[sgprFp16AltNanCheck:sgprFp16AltNanCheck+1] // 
v_pack_b32_f16 v[vgprG2LB+7], v[vgprG2Lpipe0], v[vgprG2Lpipe1], op_sel:[1,1,0] // 
_ds_store_b64 v[vgprLocalWriteAddrB], v[vgprG2LB+6:vgprG2LB+6+1] offset:1728 // lwoB_0_0_3_0 = (0*LSCB)*(MT1J+PAD) + (3*LSPB) = 1728


/* local write swap a */

v_xor_b32 v[vgprLocalWriteAddrA+0], 0x8000, v[vgprLocalWriteAddrA+0] // swap Red Blk


/* local write swap b */

v_xor_b32 v[vgprLocalWriteAddrB+0], 0x8000, v[vgprLocalWriteAddrB+0] // swap Red Blk


	;; [unrolled: 1-line block ×3, first 2 shown]
s_cmp_eq_u32 s[sgprLoopCounterL] 0x1               // PGR=2 but only 1 loop
s_cbranch_scc1 label_0012                          // PGR=2 but only 1 loop


_buffer_load_b64 v[vgprG2LA+0:vgprG2LA+0+1], v[vgprGlobalReadOffsetA+0], s[sgprSrdA:sgprSrdA+3], 0, offen offset:0 // G -> Reg 0_0_0_0
_buffer_load_b64 v[vgprG2LA+2:vgprG2LA+2+1], v[vgprGlobalReadOffsetA+1], s[sgprSrdA:sgprSrdA+3], 0, offen offset:0 // G -> Reg 1_0_0_0
_buffer_load_b64 v[vgprG2LA+4:vgprG2LA+4+1], v[vgprGlobalReadOffsetA+2], s[sgprSrdA:sgprSrdA+3], 0, offen offset:0 // G -> Reg 2_0_0_0
_buffer_load_b64 v[vgprG2LA+6:vgprG2LA+6+1], v[vgprGlobalReadOffsetA+3], s[sgprSrdA:sgprSrdA+3], 0, offen offset:0 // G -> Reg 3_0_0_0
_buffer_load_b64 v[vgprG2LA+8:vgprG2LA+8+1], v[vgprGlobalReadOffsetA+4], s[sgprSrdA:sgprSrdA+3], 0, offen offset:0 // G -> Reg 4_0_0_0


_buffer_load_b64 v[vgprG2LB+0:vgprG2LB+0+1], v[vgprGlobalReadOffsetB+0], s[sgprSrdB:sgprSrdB+3], 0, offen offset:0 // G -> Reg 0_0_0_0
_buffer_load_b64 v[vgprG2LB+2:vgprG2LB+2+1], v[vgprGlobalReadOffsetB+1], s[sgprSrdB:sgprSrdB+3], 0, offen offset:0 // G -> Reg 0_0_1_0
_buffer_load_b64 v[vgprG2LB+4:vgprG2LB+4+1], v[vgprGlobalReadOffsetB+2], s[sgprSrdB:sgprSrdB+3], 0, offen offset:0 // G -> Reg 0_0_2_0
_buffer_load_b64 v[vgprG2LB+6:vgprG2LB+6+1], v[vgprGlobalReadOffsetB+3], s[sgprSrdB:sgprSrdB+3], 0, offen offset:0 // G -> Reg 0_0_3_0

label_0012:                                        // 

s_waitcnt lgkmcnt(0)                               // lgkmcnt=0 vmcnt=-10prefetch wait for local write

// Skip force waitcnt0
s_barrier //


/* local read prefetch a */

_ds_load_u16 v[vgprValuA_X0_I0+0], v[vgprLocalReadAddrA] offset:0 // L -> Reg lro=0 swapByteOffset=0 ti=32 vIdx=0 rIdx=0 oIdx=0 buffer=0 iui=0
_ds_load_u16_d16_hi v84, v[vgprLocalReadAddrA] offset:320 // L -> Reg lro=0 swapByteOffset=0 ti=32 vIdx=0 rIdx=1 oIdx=0 buffer=0 iui=0
_ds_load_u16 v[vgprValuA_X0_I0+1], v[vgprLocalReadAddrA] offset:640 // L -> Reg lro=0 swapByteOffset=0 ti=32 vIdx=0 rIdx=2 oIdx=0 buffer=0 iui=0
_ds_load_u16_d16_hi v85, v[vgprLocalReadAddrA] offset:960 // L -> Reg lro=0 swapByteOffset=0 ti=32 vIdx=0 rIdx=3 oIdx=0 buffer=0 iui=0
	;; [unrolled: 2-line block ×10, first 2 shown]


/* local read prefetch b */

_ds_load_b128 v[vgprValuB_X0_I0+0:vgprValuB_X0_I0+0+3], v[vgprLocalReadAddrB] offset:0 // L -> Reg lro=0 swapByteOffset=0 ti=128 vIdx=0 rIdx=0 oIdx=0 buffer=0 iui=0


/* local read inc a */

/* N/A, lro->640 */
/* self.localReadDoCntA 1 self.localReadDoCntB 1 */


/* local read inc b */

/* N/A, lro->16 */
/* self.localReadDoCntA 1 self.localReadDoCntB 1 */


	;; [unrolled: 1-line block ×3, first 2 shown]
/******************************************/
/* Unrolled Loop(s) - Begin               */
/******************************************/

openLoopL_13:
s_cmp_eq_u32 s[sgprLoopCounterL], 0x1              // LoopCounterL < EndCounter
s_cbranch_scc1 label_0014                          // PGR=2 but only 1 loop, toPGR1
s_cmp_le_u32 s[sgprLoopCounterL], 0x2              // LoopCounterL < EndCounter
s_cbranch_scc1 LoopEndL_2                          // do not enter LoopL
LoopBeginL_1:


/******************************************/
/* Unrolled Loop 1/1 - Begin              */
/******************************************/

label_0015: // LoopCopy1 


/* Begin Each Unroll: Check VGPR.checkin for INT8 LW */


	;; [unrolled: 1-line block ×3, first 2 shown]
/* iter 0 */

/*  grEndMfmaIndex:3, lwStartMfmaIndex:5, lwEndMfmaIndex:14  */
/*  numMfmaForLR:4, barrierMfmaIndex:15, LocalWritePerMfma:0.900 */
/*  mfmaIndex:0  */
s_waitcnt lgkmcnt(0)                               // lgkmcnt=0 vmcnt=-1wait for prior local read local write old=0, new=0 newLW=0 newLR=0
/* pack scheduling: packAIdx:2, packBIdx:0 */
v_or_b32 v[vgprValuA_X0_I0+0], v[vgprValuA_X0_I0+0], v84 // pack two half Vgpr to one Vgpr
v_or_b32 v[vgprValuA_X0_I0+1], v[vgprValuA_X0_I0+1], v85 // pack two half Vgpr to one Vgpr
v_or_b32 v[vgprValuA_X0_I0+2], v[vgprValuA_X0_I0+2], v86 // pack two half Vgpr to one Vgpr
v_or_b32 v[vgprValuA_X0_I0+3], v[vgprValuA_X0_I0+3], v87 // pack two half Vgpr to one Vgpr
v_mfma_f32_32x32x8bf16_1k a[0+0:15+0], v[vgprValuB_X0_I0+0+0+0:vgprValuB_X0_I0+0+0+0+1], v[vgprValuA_X0_I0+0+0+0:vgprValuA_X0_I0+0+0+0+1], a[0:15]
/*  mfmaIndex:1  */
_ds_load_u16 v[vgprValuA_X1_I0+0], v[vgprLocalReadAddrA] offset:1280 // L -> Reg lro=640 swapByteOffset=0 ti=32 vIdx=0 rIdx=0 oIdx=0 buffer=1 iui=0
_ds_load_u16_d16_hi v94, v[vgprLocalReadAddrA] offset:1600 // L -> Reg lro=640 swapByteOffset=0 ti=32 vIdx=0 rIdx=1 oIdx=0 buffer=1 iui=0
_ds_load_u16 v[vgprValuA_X1_I0+1], v[vgprLocalReadAddrA] offset:1920 // L -> Reg lro=640 swapByteOffset=0 ti=32 vIdx=0 rIdx=2 oIdx=0 buffer=1 iui=0
_ds_load_u16_d16_hi v95, v[vgprLocalReadAddrA] offset:2240 // L -> Reg lro=640 swapByteOffset=0 ti=32 vIdx=0 rIdx=3 oIdx=0 buffer=1 iui=0
_ds_load_b128 v[vgprValuB_X2_I0+0:vgprValuB_X2_I0+0+3], v[vgprLocalReadAddrB] offset:32 // L -> Reg lro=16 swapByteOffset=0 ti=128 vIdx=0 rIdx=0 oIdx=0 buffer=2 iui=0
_ds_load_u16 v[vgprValuA_X1_I0+2], v[vgprLocalReadAddrA] offset:1344 // L -> Reg lro=640 swapByteOffset=0 ti=32 vIdx=1 rIdx=0 oIdx=0 buffer=1 iui=0

/* global read inc A loopL */
s_cmp_eq_u32 s[sgprLoopCounterL], s[sgprStaggerUIter] // Is this the wrapIter?
s_cselect_b32 s64, s[sgprWrapUA+0], s[sgprGlobalReadIncsA+0] // incLower <- ?
s_cselect_b32 s65, s[sgprWrapUA+1], 0              // incUpper <- ?
s_add_u32 s[sgprSrdA+0], s[sgprSrdA+0], s64        // gra SRD += inc(lower)
s_addc_u32  s[sgprSrdA+1], s[sgprSrdA+1], s65      // gra SRD += inc(upper)
s_sub_u32 s[sgprShadowLimitA+0], s[sgprShadowLimitA+0], s64 // limit -= inc)
s_subb_u32 s[sgprShadowLimitA+1], s[sgprShadowLimitA+1], s65 // limit -= inc)
/* pack scheduling: packAIdx:4, packBIdx:0 */
v_or_b32 v[vgprValuA_X0_I0+4], v[vgprValuA_X0_I0+4], v88 // pack two half Vgpr to one Vgpr
v_or_b32 v[vgprValuA_X0_I0+5], v[vgprValuA_X0_I0+5], v89 // pack two half Vgpr to one Vgpr
	;; [unrolled: 1-line block ×4, first 2 shown]
v_mfma_f32_32x32x8bf16_1k a[16+0:31+0], v[vgprValuB_X0_I0+0+0+0:vgprValuB_X0_I0+0+0+0+1], v[vgprValuA_X0_I0+2+0+0:vgprValuA_X0_I0+2+0+0+1], a[16:31]
/*  mfmaIndex:2  */
_ds_load_u16_d16_hi v96, v[vgprLocalReadAddrA] offset:1664 // L -> Reg lro=640 swapByteOffset=0 ti=32 vIdx=1 rIdx=1 oIdx=0 buffer=1 iui=0
_ds_load_u16 v[vgprValuA_X1_I0+3], v[vgprLocalReadAddrA] offset:1984 // L -> Reg lro=640 swapByteOffset=0 ti=32 vIdx=1 rIdx=2 oIdx=0 buffer=1 iui=0
_ds_load_u16_d16_hi v97, v[vgprLocalReadAddrA] offset:2304 // L -> Reg lro=640 swapByteOffset=0 ti=32 vIdx=1 rIdx=3 oIdx=0 buffer=1 iui=0
_ds_load_u16 v[vgprValuA_X1_I0+4], v[vgprLocalReadAddrA] offset:1408 // L -> Reg lro=640 swapByteOffset=0 ti=32 vIdx=2 rIdx=0 oIdx=0 buffer=1 iui=0
	;; [unrolled: 2-line block ×3, first 2 shown]
s_cmp_eq_u32 s[sgprShadowLimitA+1], 0              // are we within 2^32?
s_cselect_b32 s[sgprSrdA+2], s[sgprShadowLimitA+0], BufferLimitA // Move shadow to real if we are within 2^32

/* global read inc B loopL */
s_cmp_eq_u32 s[sgprLoopCounterL], s[sgprStaggerUIter] // Is this the wrapIter?
s_cselect_b32 s64, s[sgprWrapUB+0], s[sgprGlobalReadIncsB+0] // incLower <- ?
s_cselect_b32 s65, s[sgprWrapUB+1], 0              // incUpper <- ?
s_add_u32 s[sgprSrdB+0], s[sgprSrdB+0], s64        // gra SRD += inc(lower)
s_addc_u32  s[sgprSrdB+1], s[sgprSrdB+1], s65      // gra SRD += inc(upper)
/* pack scheduling: packAIdx:6, packBIdx:0 */
v_or_b32 v[vgprValuA_X0_I0+8], v[vgprValuA_X0_I0+8], v92 // pack two half Vgpr to one Vgpr
v_or_b32 v[vgprValuA_X0_I0+9], v[vgprValuA_X0_I0+9], v93 // pack two half Vgpr to one Vgpr
v_mfma_f32_32x32x8bf16_1k a[32+0:47+0], v[vgprValuB_X0_I0+0+0+0:vgprValuB_X0_I0+0+0+0+1], v[vgprValuA_X0_I0+4+0+0:vgprValuA_X0_I0+4+0+0+1], a[32:47]
/*  mfmaIndex:3  */
_ds_load_u16_d16_hi v99, v[vgprLocalReadAddrA] offset:2368 // L -> Reg lro=640 swapByteOffset=0 ti=32 vIdx=2 rIdx=3 oIdx=0 buffer=1 iui=0
_ds_load_u16 v[vgprValuA_X1_I0+6], v[vgprLocalReadAddrA] offset:1472 // L -> Reg lro=640 swapByteOffset=0 ti=32 vIdx=3 rIdx=0 oIdx=0 buffer=1 iui=0
_ds_load_u16_d16_hi v100, v[vgprLocalReadAddrA] offset:1792 // L -> Reg lro=640 swapByteOffset=0 ti=32 vIdx=3 rIdx=1 oIdx=0 buffer=1 iui=0
_ds_load_u16 v[vgprValuA_X1_I0+7], v[vgprLocalReadAddrA] offset:2112 // L -> Reg lro=640 swapByteOffset=0 ti=32 vIdx=3 rIdx=2 oIdx=0 buffer=1 iui=0
	;; [unrolled: 2-line block ×3, first 2 shown]
s_sub_u32 s[sgprShadowLimitB+0], s[sgprShadowLimitB+0], s64 // limit -= inc)
s_subb_u32 s[sgprShadowLimitB+1], s[sgprShadowLimitB+1], s65 // limit -= inc)
s_cmp_eq_u32 s[sgprShadowLimitB+1], 0              // are we within 2^32?
s_cselect_b32 s[sgprSrdB+2], s[sgprShadowLimitB+0], BufferLimitB // Move shadow to real if we are within 2^32
v_mfma_f32_32x32x8bf16_1k a[48+0:63+0], v[vgprValuB_X0_I0+0+0+0:vgprValuB_X0_I0+0+0+0+1], v[vgprValuA_X0_I0+6+0+0:vgprValuA_X0_I0+6+0+0+1], a[48:63]
/*  mfmaIndex:4  */
_ds_load_u16_d16_hi v102, v[vgprLocalReadAddrA] offset:1856 // L -> Reg lro=640 swapByteOffset=0 ti=32 vIdx=4 rIdx=1 oIdx=0 buffer=1 iui=0
_ds_load_u16 v[vgprValuA_X1_I0+9], v[vgprLocalReadAddrA] offset:2176 // L -> Reg lro=640 swapByteOffset=0 ti=32 vIdx=4 rIdx=2 oIdx=0 buffer=1 iui=0
_ds_load_u16_d16_hi v103, v[vgprLocalReadAddrA] offset:2496 // L -> Reg lro=640 swapByteOffset=0 ti=32 vIdx=4 rIdx=3 oIdx=0 buffer=1 iui=0
/* localReadsVacancy: latencyLeft 7 */
_ds_load_u16 v[vgprValuA_X2_I0+0], v[vgprLocalReadAddrA] offset:5120 // L -> Reg lro=2560 swapByteOffset=0 ti=32 vIdx=0 rIdx=0 oIdx=0 buffer=2 iui=0
_ds_load_u16 v[vgprValuA_X2_I0+1], v[vgprLocalReadAddrA] offset:5760 // L -> Reg lro=2560 swapByteOffset=0 ti=32 vIdx=0 rIdx=2 oIdx=0 buffer=2 iui=0
	;; [unrolled: 1-line block ×3, first 2 shown]
v_mfma_f32_32x32x8bf16_1k a[64+0:79+0], v[vgprValuB_X0_I0+0+0+0:vgprValuB_X0_I0+0+0+0+1], v[vgprValuA_X0_I0+8+0+0:vgprValuA_X0_I0+8+0+0+1], a[64:79]
/* numPrefetchIter=0 */
/* dataAtIterA=-1 numReadsIterA=1 skipReadsIterA=1 readsPerIterA=20 */
/* dataAtIterB=-1 numReadsIterB=1 skipReadsIterB=1 readsPerIterB=1 */


/* iter 1 */

/*  grEndMfmaIndex:3, lwStartMfmaIndex:5, lwEndMfmaIndex:14  */
/*  numMfmaForLR:4, barrierMfmaIndex:15, LocalWritePerMfma:0.900 */
/*  mfmaIndex:5  */
_ds_load_u16_d16_hi v84, v[vgprLocalReadAddrA] offset:5440 // L -> Reg lro=2560 swapByteOffset=0 ti=32 vIdx=0 rIdx=1 oIdx=0 buffer=2 iui=0
_ds_load_u16_d16_hi v85, v[vgprLocalReadAddrA] offset:6080 // L -> Reg lro=2560 swapByteOffset=0 ti=32 vIdx=0 rIdx=3 oIdx=0 buffer=2 iui=0
	;; [unrolled: 1-line block ×3, first 2 shown]
_ds_load_u16 v[vgprValuA_X2_I0+3], v[vgprLocalReadAddrA] offset:5824 // L -> Reg lro=2560 swapByteOffset=0 ti=32 vIdx=1 rIdx=2 oIdx=0 buffer=2 iui=0
/* sched write - iter 1 writesPerItem=1 */
s_waitcnt vmcnt(0)                                 // lgkmcnt=-1 vmcnt=0wait for global read before writing to local
v_cvt_f32_f16 v[vgprG2Lpipe0], v[vgprG2LA+0]       // 
v_cmp_u_f32 s[sgprFp16AltNanCheck:sgprFp16AltNanCheck+1], v[vgprG2Lpipe0], v[vgprG2Lpipe0] // check NaN
v_add_u32 v[vgprFp16AltTmp], s[sgprFp16AltOffset], v[vgprG2Lpipe0] // 
v_cndmask_b32 v[vgprG2Lpipe0], v[vgprFp16AltTmp], v[vgprG2Lpipe0], s[sgprFp16AltNanCheck:sgprFp16AltNanCheck+1] // 
v_cvt_f32_f16 v[vgprG2Lpipe1], v[vgprG2LA+0], src0_sel:WORD_1 // 
v_cmp_u_f32 s[sgprFp16AltNanCheck:sgprFp16AltNanCheck+1], v[vgprG2Lpipe1], v[vgprG2Lpipe1] // check NaN
v_add_u32 v[vgprFp16AltTmp], s[sgprFp16AltOffset], v[vgprG2Lpipe1] // 
v_cndmask_b32 v[vgprG2Lpipe1], v[vgprFp16AltTmp], v[vgprG2Lpipe1], s[sgprFp16AltNanCheck:sgprFp16AltNanCheck+1] // 
v_pack_b32_f16 v[vgprG2LA+0], v[vgprG2Lpipe0], v[vgprG2Lpipe1], op_sel:[1,1,0] // 
v_cvt_f32_f16 v[vgprG2Lpipe0], v[vgprG2LA+1]       // 
v_cmp_u_f32 s[sgprFp16AltNanCheck:sgprFp16AltNanCheck+1], v[vgprG2Lpipe0], v[vgprG2Lpipe0] // check NaN
v_add_u32 v[vgprFp16AltTmp], s[sgprFp16AltOffset], v[vgprG2Lpipe0] // 
v_cndmask_b32 v[vgprG2Lpipe0], v[vgprFp16AltTmp], v[vgprG2Lpipe0], s[sgprFp16AltNanCheck:sgprFp16AltNanCheck+1] // 
v_cvt_f32_f16 v[vgprG2Lpipe1], v[vgprG2LA+1], src0_sel:WORD_1 // 
v_cmp_u_f32 s[sgprFp16AltNanCheck:sgprFp16AltNanCheck+1], v[vgprG2Lpipe1], v[vgprG2Lpipe1] // check NaN
v_add_u32 v[vgprFp16AltTmp], s[sgprFp16AltOffset], v[vgprG2Lpipe1] // 
v_cndmask_b32 v[vgprG2Lpipe1], v[vgprFp16AltTmp], v[vgprG2Lpipe1], s[sgprFp16AltNanCheck:sgprFp16AltNanCheck+1] // 
v_pack_b32_f16 v[vgprG2LA+1], v[vgprG2Lpipe0], v[vgprG2Lpipe1], op_sel:[1,1,0] // 
_ds_store_b64 v[vgprLocalWriteAddrA], v[vgprG2LA+0:vgprG2LA+0+1] offset:0 // lwoA_0_0_0_0 = (0*LSCA) + (0*LSPA)(*MT0I+PAD) = 0
s_waitcnt lgkmcnt(8)                               // lgkmcnt=0 vmcnt=-1wait for prior local read local write old=3, new=8 newLW=1 newLR=4
/* pack scheduling: packAIdx:2, packBIdx:0 */
v_or_b32 v[vgprValuA_X1_I0+0], v[vgprValuA_X1_I0+0], v94 // pack two half Vgpr to one Vgpr
v_or_b32 v[vgprValuA_X1_I0+1], v[vgprValuA_X1_I0+1], v95 // pack two half Vgpr to one Vgpr
	;; [unrolled: 1-line block ×4, first 2 shown]
v_mfma_f32_32x32x8bf16_1k a[0+0:15+0], v[vgprValuB_X0_I0+0+2+0:vgprValuB_X0_I0+0+2+0+1], v[vgprValuA_X1_I0+0+0+0:vgprValuA_X1_I0+0+0+0+1], a[0:15]
/*  mfmaIndex:6  */
_ds_load_u16_d16_hi v87, v[vgprLocalReadAddrA] offset:6144 // L -> Reg lro=2560 swapByteOffset=0 ti=32 vIdx=1 rIdx=3 oIdx=0 buffer=2 iui=0
_ds_load_u16 v[vgprValuA_X2_I0+4], v[vgprLocalReadAddrA] offset:5248 // L -> Reg lro=2560 swapByteOffset=0 ti=32 vIdx=2 rIdx=0 oIdx=0 buffer=2 iui=0
_ds_load_u16_d16_hi v88, v[vgprLocalReadAddrA] offset:5568 // L -> Reg lro=2560 swapByteOffset=0 ti=32 vIdx=2 rIdx=1 oIdx=0 buffer=2 iui=0
_ds_load_u16 v[vgprValuA_X2_I0+5], v[vgprLocalReadAddrA] offset:5888 // L -> Reg lro=2560 swapByteOffset=0 ti=32 vIdx=2 rIdx=2 oIdx=0 buffer=2 iui=0
_buffer_load_b64 v[vgprG2LA+0:vgprG2LA+0+1], v[vgprGlobalReadOffsetA+0], s[sgprSrdA:sgprSrdA+3], 0, offen offset:0 // G -> Reg 0_0_0_0
/* sched write - iter 1 writesPerItem=1 */
s_waitcnt vmcnt(0)                                 // lgkmcnt=-1 vmcnt=0wait for global read before writing to local
v_cvt_f32_f16 v[vgprG2Lpipe0], v[vgprG2LA+2]       // 
v_cmp_u_f32 s[sgprFp16AltNanCheck:sgprFp16AltNanCheck+1], v[vgprG2Lpipe0], v[vgprG2Lpipe0] // check NaN
v_add_u32 v[vgprFp16AltTmp], s[sgprFp16AltOffset], v[vgprG2Lpipe0] // 
v_cndmask_b32 v[vgprG2Lpipe0], v[vgprFp16AltTmp], v[vgprG2Lpipe0], s[sgprFp16AltNanCheck:sgprFp16AltNanCheck+1] // 
v_cvt_f32_f16 v[vgprG2Lpipe1], v[vgprG2LA+2], src0_sel:WORD_1 // 
v_cmp_u_f32 s[sgprFp16AltNanCheck:sgprFp16AltNanCheck+1], v[vgprG2Lpipe1], v[vgprG2Lpipe1] // check NaN
v_add_u32 v[vgprFp16AltTmp], s[sgprFp16AltOffset], v[vgprG2Lpipe1] // 
v_cndmask_b32 v[vgprG2Lpipe1], v[vgprFp16AltTmp], v[vgprG2Lpipe1], s[sgprFp16AltNanCheck:sgprFp16AltNanCheck+1] // 
v_pack_b32_f16 v[vgprG2LA+2], v[vgprG2Lpipe0], v[vgprG2Lpipe1], op_sel:[1,1,0] // 
v_cvt_f32_f16 v[vgprG2Lpipe0], v[vgprG2LA+3]       // 
v_cmp_u_f32 s[sgprFp16AltNanCheck:sgprFp16AltNanCheck+1], v[vgprG2Lpipe0], v[vgprG2Lpipe0] // check NaN
v_add_u32 v[vgprFp16AltTmp], s[sgprFp16AltOffset], v[vgprG2Lpipe0] // 
v_cndmask_b32 v[vgprG2Lpipe0], v[vgprFp16AltTmp], v[vgprG2Lpipe0], s[sgprFp16AltNanCheck:sgprFp16AltNanCheck+1] // 
v_cvt_f32_f16 v[vgprG2Lpipe1], v[vgprG2LA+3], src0_sel:WORD_1 // 
v_cmp_u_f32 s[sgprFp16AltNanCheck:sgprFp16AltNanCheck+1], v[vgprG2Lpipe1], v[vgprG2Lpipe1] // check NaN
v_add_u32 v[vgprFp16AltTmp], s[sgprFp16AltOffset], v[vgprG2Lpipe1] // 
v_cndmask_b32 v[vgprG2Lpipe1], v[vgprFp16AltTmp], v[vgprG2Lpipe1], s[sgprFp16AltNanCheck:sgprFp16AltNanCheck+1] // 
v_pack_b32_f16 v[vgprG2LA+3], v[vgprG2Lpipe0], v[vgprG2Lpipe1], op_sel:[1,1,0] // 
_ds_store_b64 v[vgprLocalWriteAddrA], v[vgprG2LA+2:vgprG2LA+2+1] offset:64 // lwoA_1_0_0_0 = (1*LSCA) + (0*LSPA)(*MT0I+PAD) = 64
/* pack scheduling: packAIdx:4, packBIdx:0 */
v_or_b32 v[vgprValuA_X1_I0+4], v[vgprValuA_X1_I0+4], v98 // pack two half Vgpr to one Vgpr
v_or_b32 v[vgprValuA_X1_I0+5], v[vgprValuA_X1_I0+5], v99 // pack two half Vgpr to one Vgpr
	;; [unrolled: 1-line block ×4, first 2 shown]
v_mfma_f32_32x32x8bf16_1k a[16+0:31+0], v[vgprValuB_X0_I0+0+2+0:vgprValuB_X0_I0+0+2+0+1], v[vgprValuA_X1_I0+2+0+0:vgprValuA_X1_I0+2+0+0+1], a[16:31]
/*  mfmaIndex:7  */
_ds_load_u16_d16_hi v89, v[vgprLocalReadAddrA] offset:6208 // L -> Reg lro=2560 swapByteOffset=0 ti=32 vIdx=2 rIdx=3 oIdx=0 buffer=2 iui=0
_ds_load_u16 v[vgprValuA_X2_I0+6], v[vgprLocalReadAddrA] offset:5312 // L -> Reg lro=2560 swapByteOffset=0 ti=32 vIdx=3 rIdx=0 oIdx=0 buffer=2 iui=0
_ds_load_u16_d16_hi v90, v[vgprLocalReadAddrA] offset:5632 // L -> Reg lro=2560 swapByteOffset=0 ti=32 vIdx=3 rIdx=1 oIdx=0 buffer=2 iui=0
_buffer_load_b64 v[vgprG2LA+2:vgprG2LA+2+1], v[vgprGlobalReadOffsetA+1], s[sgprSrdA:sgprSrdA+3], 0, offen offset:0 // G -> Reg 1_0_0_0
/* sched write - iter 1 writesPerItem=1 */
s_waitcnt vmcnt(0)                                 // lgkmcnt=-1 vmcnt=0wait for global read before writing to local
v_cvt_f32_f16 v[vgprG2Lpipe0], v[vgprG2LA+4]       // 
v_cmp_u_f32 s[sgprFp16AltNanCheck:sgprFp16AltNanCheck+1], v[vgprG2Lpipe0], v[vgprG2Lpipe0] // check NaN
v_add_u32 v[vgprFp16AltTmp], s[sgprFp16AltOffset], v[vgprG2Lpipe0] // 
v_cndmask_b32 v[vgprG2Lpipe0], v[vgprFp16AltTmp], v[vgprG2Lpipe0], s[sgprFp16AltNanCheck:sgprFp16AltNanCheck+1] // 
v_cvt_f32_f16 v[vgprG2Lpipe1], v[vgprG2LA+4], src0_sel:WORD_1 // 
v_cmp_u_f32 s[sgprFp16AltNanCheck:sgprFp16AltNanCheck+1], v[vgprG2Lpipe1], v[vgprG2Lpipe1] // check NaN
v_add_u32 v[vgprFp16AltTmp], s[sgprFp16AltOffset], v[vgprG2Lpipe1] // 
v_cndmask_b32 v[vgprG2Lpipe1], v[vgprFp16AltTmp], v[vgprG2Lpipe1], s[sgprFp16AltNanCheck:sgprFp16AltNanCheck+1] // 
v_pack_b32_f16 v[vgprG2LA+4], v[vgprG2Lpipe0], v[vgprG2Lpipe1], op_sel:[1,1,0] // 
v_cvt_f32_f16 v[vgprG2Lpipe0], v[vgprG2LA+5]       // 
v_cmp_u_f32 s[sgprFp16AltNanCheck:sgprFp16AltNanCheck+1], v[vgprG2Lpipe0], v[vgprG2Lpipe0] // check NaN
v_add_u32 v[vgprFp16AltTmp], s[sgprFp16AltOffset], v[vgprG2Lpipe0] // 
v_cndmask_b32 v[vgprG2Lpipe0], v[vgprFp16AltTmp], v[vgprG2Lpipe0], s[sgprFp16AltNanCheck:sgprFp16AltNanCheck+1] // 
v_cvt_f32_f16 v[vgprG2Lpipe1], v[vgprG2LA+5], src0_sel:WORD_1 // 
v_cmp_u_f32 s[sgprFp16AltNanCheck:sgprFp16AltNanCheck+1], v[vgprG2Lpipe1], v[vgprG2Lpipe1] // check NaN
v_add_u32 v[vgprFp16AltTmp], s[sgprFp16AltOffset], v[vgprG2Lpipe1] // 
v_cndmask_b32 v[vgprG2Lpipe1], v[vgprFp16AltTmp], v[vgprG2Lpipe1], s[sgprFp16AltNanCheck:sgprFp16AltNanCheck+1] // 
v_pack_b32_f16 v[vgprG2LA+5], v[vgprG2Lpipe0], v[vgprG2Lpipe1], op_sel:[1,1,0] // 
_ds_store_b64 v[vgprLocalWriteAddrA], v[vgprG2LA+4:vgprG2LA+4+1] offset:128 // lwoA_2_0_0_0 = (2*LSCA) + (0*LSPA)(*MT0I+PAD) = 128
/* pack scheduling: packAIdx:6, packBIdx:0 */
v_or_b32 v[vgprValuA_X1_I0+8], v[vgprValuA_X1_I0+8], v102 // pack two half Vgpr to one Vgpr
v_or_b32 v[vgprValuA_X1_I0+9], v[vgprValuA_X1_I0+9], v103 // pack two half Vgpr to one Vgpr
v_mfma_f32_32x32x8bf16_1k a[32+0:47+0], v[vgprValuB_X0_I0+0+2+0:vgprValuB_X0_I0+0+2+0+1], v[vgprValuA_X1_I0+4+0+0:vgprValuA_X1_I0+4+0+0+1], a[32:47]
/*  mfmaIndex:8  */
_ds_load_u16 v[vgprValuA_X2_I0+7], v[vgprLocalReadAddrA] offset:5952 // L -> Reg lro=2560 swapByteOffset=0 ti=32 vIdx=3 rIdx=2 oIdx=0 buffer=2 iui=0
_ds_load_u16_d16_hi v91, v[vgprLocalReadAddrA] offset:6272 // L -> Reg lro=2560 swapByteOffset=0 ti=32 vIdx=3 rIdx=3 oIdx=0 buffer=2 iui=0
_ds_load_u16 v[vgprValuA_X2_I0+8], v[vgprLocalReadAddrA] offset:5376 // L -> Reg lro=2560 swapByteOffset=0 ti=32 vIdx=4 rIdx=0 oIdx=0 buffer=2 iui=0
_buffer_load_b64 v[vgprG2LA+4:vgprG2LA+4+1], v[vgprGlobalReadOffsetA+2], s[sgprSrdA:sgprSrdA+3], 0, offen offset:0 // G -> Reg 2_0_0_0
/* sched write - iter 1 writesPerItem=1 */
s_waitcnt vmcnt(0)                                 // lgkmcnt=-1 vmcnt=0wait for global read before writing to local
v_cvt_f32_f16 v[vgprG2Lpipe0], v[vgprG2LA+6]       // 
v_cmp_u_f32 s[sgprFp16AltNanCheck:sgprFp16AltNanCheck+1], v[vgprG2Lpipe0], v[vgprG2Lpipe0] // check NaN
v_add_u32 v[vgprFp16AltTmp], s[sgprFp16AltOffset], v[vgprG2Lpipe0] // 
v_cndmask_b32 v[vgprG2Lpipe0], v[vgprFp16AltTmp], v[vgprG2Lpipe0], s[sgprFp16AltNanCheck:sgprFp16AltNanCheck+1] // 
v_cvt_f32_f16 v[vgprG2Lpipe1], v[vgprG2LA+6], src0_sel:WORD_1 // 
v_cmp_u_f32 s[sgprFp16AltNanCheck:sgprFp16AltNanCheck+1], v[vgprG2Lpipe1], v[vgprG2Lpipe1] // check NaN
v_add_u32 v[vgprFp16AltTmp], s[sgprFp16AltOffset], v[vgprG2Lpipe1] // 
v_cndmask_b32 v[vgprG2Lpipe1], v[vgprFp16AltTmp], v[vgprG2Lpipe1], s[sgprFp16AltNanCheck:sgprFp16AltNanCheck+1] // 
v_pack_b32_f16 v[vgprG2LA+6], v[vgprG2Lpipe0], v[vgprG2Lpipe1], op_sel:[1,1,0] // 
v_cvt_f32_f16 v[vgprG2Lpipe0], v[vgprG2LA+7]       // 
v_cmp_u_f32 s[sgprFp16AltNanCheck:sgprFp16AltNanCheck+1], v[vgprG2Lpipe0], v[vgprG2Lpipe0] // check NaN
v_add_u32 v[vgprFp16AltTmp], s[sgprFp16AltOffset], v[vgprG2Lpipe0] // 
v_cndmask_b32 v[vgprG2Lpipe0], v[vgprFp16AltTmp], v[vgprG2Lpipe0], s[sgprFp16AltNanCheck:sgprFp16AltNanCheck+1] // 
v_cvt_f32_f16 v[vgprG2Lpipe1], v[vgprG2LA+7], src0_sel:WORD_1 // 
v_cmp_u_f32 s[sgprFp16AltNanCheck:sgprFp16AltNanCheck+1], v[vgprG2Lpipe1], v[vgprG2Lpipe1] // check NaN
v_add_u32 v[vgprFp16AltTmp], s[sgprFp16AltOffset], v[vgprG2Lpipe1] // 
v_cndmask_b32 v[vgprG2Lpipe1], v[vgprFp16AltTmp], v[vgprG2Lpipe1], s[sgprFp16AltNanCheck:sgprFp16AltNanCheck+1] // 
v_pack_b32_f16 v[vgprG2LA+7], v[vgprG2Lpipe0], v[vgprG2Lpipe1], op_sel:[1,1,0] // 
_ds_store_b64 v[vgprLocalWriteAddrA], v[vgprG2LA+6:vgprG2LA+6+1] offset:192 // lwoA_3_0_0_0 = (3*LSCA) + (0*LSPA)(*MT0I+PAD) = 192
v_mfma_f32_32x32x8bf16_1k a[48+0:63+0], v[vgprValuB_X0_I0+0+2+0:vgprValuB_X0_I0+0+2+0+1], v[vgprValuA_X1_I0+6+0+0:vgprValuA_X1_I0+6+0+0+1], a[48:63]
/*  mfmaIndex:9  */
_ds_load_u16_d16_hi v92, v[vgprLocalReadAddrA] offset:5696 // L -> Reg lro=2560 swapByteOffset=0 ti=32 vIdx=4 rIdx=1 oIdx=0 buffer=2 iui=0
_ds_load_u16 v[vgprValuA_X2_I0+9], v[vgprLocalReadAddrA] offset:6016 // L -> Reg lro=2560 swapByteOffset=0 ti=32 vIdx=4 rIdx=2 oIdx=0 buffer=2 iui=0
_ds_load_u16_d16_hi v93, v[vgprLocalReadAddrA] offset:6336 // L -> Reg lro=2560 swapByteOffset=0 ti=32 vIdx=4 rIdx=3 oIdx=0 buffer=2 iui=0
/* localReadsVacancy: latencyLeft 1 */
_buffer_load_b64 v[vgprG2LA+6:vgprG2LA+6+1], v[vgprGlobalReadOffsetA+3], s[sgprSrdA:sgprSrdA+3], 0, offen offset:0 // G -> Reg 3_0_0_0
/* sched write - iter 1 writesPerItem=1 */
s_waitcnt vmcnt(0)                                 // lgkmcnt=-1 vmcnt=0wait for global read before writing to local
v_cvt_f32_f16 v[vgprG2Lpipe0], v[vgprG2LA+8]       // 
v_cmp_u_f32 s[sgprFp16AltNanCheck:sgprFp16AltNanCheck+1], v[vgprG2Lpipe0], v[vgprG2Lpipe0] // check NaN
v_add_u32 v[vgprFp16AltTmp], s[sgprFp16AltOffset], v[vgprG2Lpipe0] // 
v_cndmask_b32 v[vgprG2Lpipe0], v[vgprFp16AltTmp], v[vgprG2Lpipe0], s[sgprFp16AltNanCheck:sgprFp16AltNanCheck+1] // 
v_cvt_f32_f16 v[vgprG2Lpipe1], v[vgprG2LA+8], src0_sel:WORD_1 // 
v_cmp_u_f32 s[sgprFp16AltNanCheck:sgprFp16AltNanCheck+1], v[vgprG2Lpipe1], v[vgprG2Lpipe1] // check NaN
v_add_u32 v[vgprFp16AltTmp], s[sgprFp16AltOffset], v[vgprG2Lpipe1] // 
v_cndmask_b32 v[vgprG2Lpipe1], v[vgprFp16AltTmp], v[vgprG2Lpipe1], s[sgprFp16AltNanCheck:sgprFp16AltNanCheck+1] // 
v_pack_b32_f16 v[vgprG2LA+8], v[vgprG2Lpipe0], v[vgprG2Lpipe1], op_sel:[1,1,0] // 
v_cvt_f32_f16 v[vgprG2Lpipe0], v[vgprG2LA+9]       // 
v_cmp_u_f32 s[sgprFp16AltNanCheck:sgprFp16AltNanCheck+1], v[vgprG2Lpipe0], v[vgprG2Lpipe0] // check NaN
v_add_u32 v[vgprFp16AltTmp], s[sgprFp16AltOffset], v[vgprG2Lpipe0] // 
v_cndmask_b32 v[vgprG2Lpipe0], v[vgprFp16AltTmp], v[vgprG2Lpipe0], s[sgprFp16AltNanCheck:sgprFp16AltNanCheck+1] // 
v_cvt_f32_f16 v[vgprG2Lpipe1], v[vgprG2LA+9], src0_sel:WORD_1 // 
v_cmp_u_f32 s[sgprFp16AltNanCheck:sgprFp16AltNanCheck+1], v[vgprG2Lpipe1], v[vgprG2Lpipe1] // check NaN
v_add_u32 v[vgprFp16AltTmp], s[sgprFp16AltOffset], v[vgprG2Lpipe1] // 
v_cndmask_b32 v[vgprG2Lpipe1], v[vgprFp16AltTmp], v[vgprG2Lpipe1], s[sgprFp16AltNanCheck:sgprFp16AltNanCheck+1] // 
v_pack_b32_f16 v[vgprG2LA+9], v[vgprG2Lpipe0], v[vgprG2Lpipe1], op_sel:[1,1,0] // 
_ds_store_b64 v[vgprLocalWriteAddrA], v[vgprG2LA+8:vgprG2LA+8+1] offset:256 // lwoA_4_0_0_0 = (4*LSCA) + (0*LSPA)(*MT0I+PAD) = 256
v_mfma_f32_32x32x8bf16_1k a[64+0:79+0], v[vgprValuB_X0_I0+0+2+0:vgprValuB_X0_I0+0+2+0+1], v[vgprValuA_X1_I0+8+0+0:vgprValuA_X1_I0+8+0+0+1], a[64:79]
/* numPrefetchIter=0 */
/* dataAtIterA=0 numReadsIterA=2 skipReadsIterA=1 readsPerIterA=20 */
/* dataAtIterB=-1 numReadsIterB=1 skipReadsIterB=0 readsPerIterB=1 */


/* iter 2 (reset local read pointers iteration)  (swap and reset local write pointers iteration)  (swap local read pointers iteration)  */

/*  grEndMfmaIndex:3, lwStartMfmaIndex:5, lwEndMfmaIndex:14  */
/*  numMfmaForLR:4, barrierMfmaIndex:15, LocalWritePerMfma:0.900 */
/*  mfmaIndex:10  */
_ds_load_u16 v[vgprValuA_X3_I0+0], v[vgprLocalReadAddrA] offset:6400 // L -> Reg lro=3200 swapByteOffset=0 ti=32 vIdx=0 rIdx=0 oIdx=0 buffer=3 iui=0
_ds_load_u16_d16_hi v94, v[vgprLocalReadAddrA] offset:6720 // L -> Reg lro=3200 swapByteOffset=0 ti=32 vIdx=0 rIdx=1 oIdx=0 buffer=3 iui=0
_ds_load_u16 v[vgprValuA_X3_I0+1], v[vgprLocalReadAddrA] offset:7040 // L -> Reg lro=3200 swapByteOffset=0 ti=32 vIdx=0 rIdx=2 oIdx=0 buffer=3 iui=0
_ds_load_u16_d16_hi v95, v[vgprLocalReadAddrA] offset:7360 // L -> Reg lro=3200 swapByteOffset=0 ti=32 vIdx=0 rIdx=3 oIdx=0 buffer=3 iui=0
_buffer_load_b64 v[vgprG2LA+8:vgprG2LA+8+1], v[vgprGlobalReadOffsetA+4], s[sgprSrdA:sgprSrdA+3], 0, offen offset:0 // G -> Reg 4_0_0_0
/* sched write - iter 2 writesPerItem=1 */
s_waitcnt vmcnt(0)                                 // lgkmcnt=-1 vmcnt=0wait for global read before writing to local
v_cvt_f32_f16 v[vgprG2Lpipe0], v[vgprG2LB+0]       // 
v_cmp_u_f32 s[sgprFp16AltNanCheck:sgprFp16AltNanCheck+1], v[vgprG2Lpipe0], v[vgprG2Lpipe0] // check NaN
v_add_u32 v[vgprFp16AltTmp], s[sgprFp16AltOffset], v[vgprG2Lpipe0] // 
v_cndmask_b32 v[vgprG2Lpipe0], v[vgprFp16AltTmp], v[vgprG2Lpipe0], s[sgprFp16AltNanCheck:sgprFp16AltNanCheck+1] // 
v_cvt_f32_f16 v[vgprG2Lpipe1], v[vgprG2LB+0], src0_sel:WORD_1 // 
v_cmp_u_f32 s[sgprFp16AltNanCheck:sgprFp16AltNanCheck+1], v[vgprG2Lpipe1], v[vgprG2Lpipe1] // check NaN
v_add_u32 v[vgprFp16AltTmp], s[sgprFp16AltOffset], v[vgprG2Lpipe1] // 
v_cndmask_b32 v[vgprG2Lpipe1], v[vgprFp16AltTmp], v[vgprG2Lpipe1], s[sgprFp16AltNanCheck:sgprFp16AltNanCheck+1] // 
v_pack_b32_f16 v[vgprG2LB+0], v[vgprG2Lpipe0], v[vgprG2Lpipe1], op_sel:[1,1,0] // 
v_cvt_f32_f16 v[vgprG2Lpipe0], v[vgprG2LB+1]       // 
v_cmp_u_f32 s[sgprFp16AltNanCheck:sgprFp16AltNanCheck+1], v[vgprG2Lpipe0], v[vgprG2Lpipe0] // check NaN
v_add_u32 v[vgprFp16AltTmp], s[sgprFp16AltOffset], v[vgprG2Lpipe0] // 
v_cndmask_b32 v[vgprG2Lpipe0], v[vgprFp16AltTmp], v[vgprG2Lpipe0], s[sgprFp16AltNanCheck:sgprFp16AltNanCheck+1] // 
v_cvt_f32_f16 v[vgprG2Lpipe1], v[vgprG2LB+1], src0_sel:WORD_1 // 
v_cmp_u_f32 s[sgprFp16AltNanCheck:sgprFp16AltNanCheck+1], v[vgprG2Lpipe1], v[vgprG2Lpipe1] // check NaN
v_add_u32 v[vgprFp16AltTmp], s[sgprFp16AltOffset], v[vgprG2Lpipe1] // 
v_cndmask_b32 v[vgprG2Lpipe1], v[vgprFp16AltTmp], v[vgprG2Lpipe1], s[sgprFp16AltNanCheck:sgprFp16AltNanCheck+1] // 
v_pack_b32_f16 v[vgprG2LB+1], v[vgprG2Lpipe0], v[vgprG2Lpipe1], op_sel:[1,1,0] // 
_ds_store_b64 v[vgprLocalWriteAddrB], v[vgprG2LB+0:vgprG2LB+0+1] offset:0 // lwoB_0_0_0_0 = (0*LSCB)*(MT1J+PAD) + (0*LSPB) = 0
s_waitcnt lgkmcnt(6)                               // lgkmcnt=0 vmcnt=-1wait for prior local read local write old=0, new=6 newLW=2 newLR=4
/* pack scheduling: packAIdx:2, packBIdx:0 */
v_or_b32 v[vgprValuA_X2_I0+0], v[vgprValuA_X2_I0+0], v84 // pack two half Vgpr to one Vgpr
v_or_b32 v[vgprValuA_X2_I0+1], v[vgprValuA_X2_I0+1], v85 // pack two half Vgpr to one Vgpr
	;; [unrolled: 1-line block ×4, first 2 shown]
v_mfma_f32_32x32x8bf16_1k a[0+0:15+0], v[vgprValuB_X2_I0+0+0+0:vgprValuB_X2_I0+0+0+0+1], v[vgprValuA_X2_I0+0+0+0:vgprValuA_X2_I0+0+0+0+1], a[0:15]
/*  mfmaIndex:11  */
_ds_load_u16 v[vgprValuA_X3_I0+2], v[vgprLocalReadAddrA] offset:6464 // L -> Reg lro=3200 swapByteOffset=0 ti=32 vIdx=1 rIdx=0 oIdx=0 buffer=3 iui=0
_ds_load_u16_d16_hi v96, v[vgprLocalReadAddrA] offset:6784 // L -> Reg lro=3200 swapByteOffset=0 ti=32 vIdx=1 rIdx=1 oIdx=0 buffer=3 iui=0
_ds_load_u16 v[vgprValuA_X3_I0+3], v[vgprLocalReadAddrA] offset:7104 // L -> Reg lro=3200 swapByteOffset=0 ti=32 vIdx=1 rIdx=2 oIdx=0 buffer=3 iui=0
_ds_load_u16_d16_hi v97, v[vgprLocalReadAddrA] offset:7424 // L -> Reg lro=3200 swapByteOffset=0 ti=32 vIdx=1 rIdx=3 oIdx=0 buffer=3 iui=0
_buffer_load_b64 v[vgprG2LB+0:vgprG2LB+0+1], v[vgprGlobalReadOffsetB+0], s[sgprSrdB:sgprSrdB+3], 0, offen offset:0 // G -> Reg 0_0_0_0
/* sched write - iter 2 writesPerItem=1 */
s_waitcnt vmcnt(0)                                 // lgkmcnt=-1 vmcnt=0wait for global read before writing to local
v_cvt_f32_f16 v[vgprG2Lpipe0], v[vgprG2LB+2]       // 
v_cmp_u_f32 s[sgprFp16AltNanCheck:sgprFp16AltNanCheck+1], v[vgprG2Lpipe0], v[vgprG2Lpipe0] // check NaN
v_add_u32 v[vgprFp16AltTmp], s[sgprFp16AltOffset], v[vgprG2Lpipe0] // 
v_cndmask_b32 v[vgprG2Lpipe0], v[vgprFp16AltTmp], v[vgprG2Lpipe0], s[sgprFp16AltNanCheck:sgprFp16AltNanCheck+1] // 
v_cvt_f32_f16 v[vgprG2Lpipe1], v[vgprG2LB+2], src0_sel:WORD_1 // 
v_cmp_u_f32 s[sgprFp16AltNanCheck:sgprFp16AltNanCheck+1], v[vgprG2Lpipe1], v[vgprG2Lpipe1] // check NaN
v_add_u32 v[vgprFp16AltTmp], s[sgprFp16AltOffset], v[vgprG2Lpipe1] // 
v_cndmask_b32 v[vgprG2Lpipe1], v[vgprFp16AltTmp], v[vgprG2Lpipe1], s[sgprFp16AltNanCheck:sgprFp16AltNanCheck+1] // 
v_pack_b32_f16 v[vgprG2LB+2], v[vgprG2Lpipe0], v[vgprG2Lpipe1], op_sel:[1,1,0] // 
v_cvt_f32_f16 v[vgprG2Lpipe0], v[vgprG2LB+3]       // 
v_cmp_u_f32 s[sgprFp16AltNanCheck:sgprFp16AltNanCheck+1], v[vgprG2Lpipe0], v[vgprG2Lpipe0] // check NaN
v_add_u32 v[vgprFp16AltTmp], s[sgprFp16AltOffset], v[vgprG2Lpipe0] // 
v_cndmask_b32 v[vgprG2Lpipe0], v[vgprFp16AltTmp], v[vgprG2Lpipe0], s[sgprFp16AltNanCheck:sgprFp16AltNanCheck+1] // 
v_cvt_f32_f16 v[vgprG2Lpipe1], v[vgprG2LB+3], src0_sel:WORD_1 // 
v_cmp_u_f32 s[sgprFp16AltNanCheck:sgprFp16AltNanCheck+1], v[vgprG2Lpipe1], v[vgprG2Lpipe1] // check NaN
v_add_u32 v[vgprFp16AltTmp], s[sgprFp16AltOffset], v[vgprG2Lpipe1] // 
v_cndmask_b32 v[vgprG2Lpipe1], v[vgprFp16AltTmp], v[vgprG2Lpipe1], s[sgprFp16AltNanCheck:sgprFp16AltNanCheck+1] // 
v_pack_b32_f16 v[vgprG2LB+3], v[vgprG2Lpipe0], v[vgprG2Lpipe1], op_sel:[1,1,0] // 
_ds_store_b64 v[vgprLocalWriteAddrB], v[vgprG2LB+2:vgprG2LB+2+1] offset:576 // lwoB_0_0_1_0 = (0*LSCB)*(MT1J+PAD) + (1*LSPB) = 576
/* pack scheduling: packAIdx:4, packBIdx:0 */
v_or_b32 v[vgprValuA_X2_I0+4], v[vgprValuA_X2_I0+4], v88 // pack two half Vgpr to one Vgpr
v_or_b32 v[vgprValuA_X2_I0+5], v[vgprValuA_X2_I0+5], v89 // pack two half Vgpr to one Vgpr
	;; [unrolled: 1-line block ×4, first 2 shown]
v_mfma_f32_32x32x8bf16_1k a[16+0:31+0], v[vgprValuB_X2_I0+0+0+0:vgprValuB_X2_I0+0+0+0+1], v[vgprValuA_X2_I0+2+0+0:vgprValuA_X2_I0+2+0+0+1], a[16:31]
/*  mfmaIndex:12  */
_ds_load_u16 v[vgprValuA_X3_I0+4], v[vgprLocalReadAddrA] offset:6528 // L -> Reg lro=3200 swapByteOffset=0 ti=32 vIdx=2 rIdx=0 oIdx=0 buffer=3 iui=0
_ds_load_u16_d16_hi v98, v[vgprLocalReadAddrA] offset:6848 // L -> Reg lro=3200 swapByteOffset=0 ti=32 vIdx=2 rIdx=1 oIdx=0 buffer=3 iui=0
_ds_load_u16 v[vgprValuA_X3_I0+5], v[vgprLocalReadAddrA] offset:7168 // L -> Reg lro=3200 swapByteOffset=0 ti=32 vIdx=2 rIdx=2 oIdx=0 buffer=3 iui=0
_ds_load_u16_d16_hi v99, v[vgprLocalReadAddrA] offset:7488 // L -> Reg lro=3200 swapByteOffset=0 ti=32 vIdx=2 rIdx=3 oIdx=0 buffer=3 iui=0
_buffer_load_b64 v[vgprG2LB+2:vgprG2LB+2+1], v[vgprGlobalReadOffsetB+1], s[sgprSrdB:sgprSrdB+3], 0, offen offset:0 // G -> Reg 0_0_1_0
/* sched write - iter 2 writesPerItem=1 */
s_waitcnt vmcnt(0)                                 // lgkmcnt=-1 vmcnt=0wait for global read before writing to local
v_cvt_f32_f16 v[vgprG2Lpipe0], v[vgprG2LB+4]       // 
v_cmp_u_f32 s[sgprFp16AltNanCheck:sgprFp16AltNanCheck+1], v[vgprG2Lpipe0], v[vgprG2Lpipe0] // check NaN
v_add_u32 v[vgprFp16AltTmp], s[sgprFp16AltOffset], v[vgprG2Lpipe0] // 
v_cndmask_b32 v[vgprG2Lpipe0], v[vgprFp16AltTmp], v[vgprG2Lpipe0], s[sgprFp16AltNanCheck:sgprFp16AltNanCheck+1] // 
v_cvt_f32_f16 v[vgprG2Lpipe1], v[vgprG2LB+4], src0_sel:WORD_1 // 
v_cmp_u_f32 s[sgprFp16AltNanCheck:sgprFp16AltNanCheck+1], v[vgprG2Lpipe1], v[vgprG2Lpipe1] // check NaN
v_add_u32 v[vgprFp16AltTmp], s[sgprFp16AltOffset], v[vgprG2Lpipe1] // 
v_cndmask_b32 v[vgprG2Lpipe1], v[vgprFp16AltTmp], v[vgprG2Lpipe1], s[sgprFp16AltNanCheck:sgprFp16AltNanCheck+1] // 
v_pack_b32_f16 v[vgprG2LB+4], v[vgprG2Lpipe0], v[vgprG2Lpipe1], op_sel:[1,1,0] // 
v_cvt_f32_f16 v[vgprG2Lpipe0], v[vgprG2LB+5]       // 
v_cmp_u_f32 s[sgprFp16AltNanCheck:sgprFp16AltNanCheck+1], v[vgprG2Lpipe0], v[vgprG2Lpipe0] // check NaN
v_add_u32 v[vgprFp16AltTmp], s[sgprFp16AltOffset], v[vgprG2Lpipe0] // 
v_cndmask_b32 v[vgprG2Lpipe0], v[vgprFp16AltTmp], v[vgprG2Lpipe0], s[sgprFp16AltNanCheck:sgprFp16AltNanCheck+1] // 
v_cvt_f32_f16 v[vgprG2Lpipe1], v[vgprG2LB+5], src0_sel:WORD_1 // 
v_cmp_u_f32 s[sgprFp16AltNanCheck:sgprFp16AltNanCheck+1], v[vgprG2Lpipe1], v[vgprG2Lpipe1] // check NaN
v_add_u32 v[vgprFp16AltTmp], s[sgprFp16AltOffset], v[vgprG2Lpipe1] // 
v_cndmask_b32 v[vgprG2Lpipe1], v[vgprFp16AltTmp], v[vgprG2Lpipe1], s[sgprFp16AltNanCheck:sgprFp16AltNanCheck+1] // 
v_pack_b32_f16 v[vgprG2LB+5], v[vgprG2Lpipe0], v[vgprG2Lpipe1], op_sel:[1,1,0] // 
_ds_store_b64 v[vgprLocalWriteAddrB], v[vgprG2LB+4:vgprG2LB+4+1] offset:1152 // lwoB_0_0_2_0 = (0*LSCB)*(MT1J+PAD) + (2*LSPB) = 1152
/* pack scheduling: packAIdx:6, packBIdx:0 */
v_or_b32 v[vgprValuA_X2_I0+8], v[vgprValuA_X2_I0+8], v92 // pack two half Vgpr to one Vgpr
v_or_b32 v[vgprValuA_X2_I0+9], v[vgprValuA_X2_I0+9], v93 // pack two half Vgpr to one Vgpr
v_mfma_f32_32x32x8bf16_1k a[32+0:47+0], v[vgprValuB_X2_I0+0+0+0:vgprValuB_X2_I0+0+0+0+1], v[vgprValuA_X2_I0+4+0+0:vgprValuA_X2_I0+4+0+0+1], a[32:47]
/*  mfmaIndex:13  */
_ds_load_u16 v[vgprValuA_X3_I0+6], v[vgprLocalReadAddrA] offset:6592 // L -> Reg lro=3200 swapByteOffset=0 ti=32 vIdx=3 rIdx=0 oIdx=0 buffer=3 iui=0
_ds_load_u16_d16_hi v100, v[vgprLocalReadAddrA] offset:6912 // L -> Reg lro=3200 swapByteOffset=0 ti=32 vIdx=3 rIdx=1 oIdx=0 buffer=3 iui=0
_ds_load_u16 v[vgprValuA_X3_I0+7], v[vgprLocalReadAddrA] offset:7232 // L -> Reg lro=3200 swapByteOffset=0 ti=32 vIdx=3 rIdx=2 oIdx=0 buffer=3 iui=0
_ds_load_u16_d16_hi v101, v[vgprLocalReadAddrA] offset:7552 // L -> Reg lro=3200 swapByteOffset=0 ti=32 vIdx=3 rIdx=3 oIdx=0 buffer=3 iui=0
_buffer_load_b64 v[vgprG2LB+4:vgprG2LB+4+1], v[vgprGlobalReadOffsetB+2], s[sgprSrdB:sgprSrdB+3], 0, offen offset:0 // G -> Reg 0_0_2_0
/* sched write - iter 2 writesPerItem=1 */
s_waitcnt vmcnt(0)                                 // lgkmcnt=-1 vmcnt=0wait for global read before writing to local
v_cvt_f32_f16 v[vgprG2Lpipe0], v[vgprG2LB+6]       // 
v_cmp_u_f32 s[sgprFp16AltNanCheck:sgprFp16AltNanCheck+1], v[vgprG2Lpipe0], v[vgprG2Lpipe0] // check NaN
v_add_u32 v[vgprFp16AltTmp], s[sgprFp16AltOffset], v[vgprG2Lpipe0] // 
v_cndmask_b32 v[vgprG2Lpipe0], v[vgprFp16AltTmp], v[vgprG2Lpipe0], s[sgprFp16AltNanCheck:sgprFp16AltNanCheck+1] // 
v_cvt_f32_f16 v[vgprG2Lpipe1], v[vgprG2LB+6], src0_sel:WORD_1 // 
v_cmp_u_f32 s[sgprFp16AltNanCheck:sgprFp16AltNanCheck+1], v[vgprG2Lpipe1], v[vgprG2Lpipe1] // check NaN
v_add_u32 v[vgprFp16AltTmp], s[sgprFp16AltOffset], v[vgprG2Lpipe1] // 
v_cndmask_b32 v[vgprG2Lpipe1], v[vgprFp16AltTmp], v[vgprG2Lpipe1], s[sgprFp16AltNanCheck:sgprFp16AltNanCheck+1] // 
v_pack_b32_f16 v[vgprG2LB+6], v[vgprG2Lpipe0], v[vgprG2Lpipe1], op_sel:[1,1,0] // 
v_cvt_f32_f16 v[vgprG2Lpipe0], v[vgprG2LB+7]       // 
v_cmp_u_f32 s[sgprFp16AltNanCheck:sgprFp16AltNanCheck+1], v[vgprG2Lpipe0], v[vgprG2Lpipe0] // check NaN
v_add_u32 v[vgprFp16AltTmp], s[sgprFp16AltOffset], v[vgprG2Lpipe0] // 
v_cndmask_b32 v[vgprG2Lpipe0], v[vgprFp16AltTmp], v[vgprG2Lpipe0], s[sgprFp16AltNanCheck:sgprFp16AltNanCheck+1] // 
v_cvt_f32_f16 v[vgprG2Lpipe1], v[vgprG2LB+7], src0_sel:WORD_1 // 
v_cmp_u_f32 s[sgprFp16AltNanCheck:sgprFp16AltNanCheck+1], v[vgprG2Lpipe1], v[vgprG2Lpipe1] // check NaN
v_add_u32 v[vgprFp16AltTmp], s[sgprFp16AltOffset], v[vgprG2Lpipe1] // 
v_cndmask_b32 v[vgprG2Lpipe1], v[vgprFp16AltTmp], v[vgprG2Lpipe1], s[sgprFp16AltNanCheck:sgprFp16AltNanCheck+1] // 
v_pack_b32_f16 v[vgprG2LB+7], v[vgprG2Lpipe0], v[vgprG2Lpipe1], op_sel:[1,1,0] // 
_ds_store_b64 v[vgprLocalWriteAddrB], v[vgprG2LB+6:vgprG2LB+6+1] offset:1728 // lwoB_0_0_3_0 = (0*LSCB)*(MT1J+PAD) + (3*LSPB) = 1728
v_mfma_f32_32x32x8bf16_1k a[48+0:63+0], v[vgprValuB_X2_I0+0+0+0:vgprValuB_X2_I0+0+0+0+1], v[vgprValuA_X2_I0+6+0+0:vgprValuA_X2_I0+6+0+0+1], a[48:63]
/*  mfmaIndex:14  */
_ds_load_u16 v[vgprValuA_X3_I0+8], v[vgprLocalReadAddrA] offset:6656 // L -> Reg lro=3200 swapByteOffset=0 ti=32 vIdx=4 rIdx=0 oIdx=0 buffer=3 iui=0
_ds_load_u16_d16_hi v102, v[vgprLocalReadAddrA] offset:6976 // L -> Reg lro=3200 swapByteOffset=0 ti=32 vIdx=4 rIdx=1 oIdx=0 buffer=3 iui=0
_ds_load_u16 v[vgprValuA_X3_I0+9], v[vgprLocalReadAddrA] offset:7296 // L -> Reg lro=3200 swapByteOffset=0 ti=32 vIdx=4 rIdx=2 oIdx=0 buffer=3 iui=0
_ds_load_u16_d16_hi v103, v[vgprLocalReadAddrA] offset:7616 // L -> Reg lro=3200 swapByteOffset=0 ti=32 vIdx=4 rIdx=3 oIdx=0 buffer=3 iui=0
/* localReadsVacancy: latencyLeft 5 */
_buffer_load_b64 v[vgprG2LB+6:vgprG2LB+6+1], v[vgprGlobalReadOffsetB+3], s[sgprSrdB:sgprSrdB+3], 0, offen offset:0 // G -> Reg 0_0_3_0

/* local write swap offsets a */
v_xor_b32 v[vgprLocalWriteAddrA+0], 0x8000, v[vgprLocalWriteAddrA+0] // swap Red Blk

/* local write swap offsets b */
v_xor_b32 v[vgprLocalWriteAddrB+0], 0x8000, v[vgprLocalWriteAddrB+0] // swap Red Blk

/* local read swap offsets a */
v_xor_b32 v[vgprLocalReadAddrA], 0x8000, v[vgprLocalReadAddrA] // swap Red Blk

/* local read swap offsets b */
v_xor_b32 v[vgprLocalReadAddrB], 0x8000, v[vgprLocalReadAddrB] // swap Red Blk

/* local read init pointers a */

/* localReadInitPointers */

/* local read init pointers b */

/* localReadInitPointers */
v_mfma_f32_32x32x8bf16_1k a[64+0:79+0], v[vgprValuB_X2_I0+0+0+0:vgprValuB_X2_I0+0+0+0+1], v[vgprValuA_X2_I0+8+0+0:vgprValuA_X2_I0+8+0+0+1], a[64:79]
/* numPrefetchIter=0 */
/* dataAtIterA=1 numReadsIterA=3 skipReadsIterA=1 readsPerIterA=20 */
/* dataAtIterB=0 numReadsIterB=1 skipReadsIterB=0 readsPerIterB=1 */


/* iter 3 */

/*  grEndMfmaIndex:3, lwStartMfmaIndex:5, lwEndMfmaIndex:14  */
/*  numMfmaForLR:4, barrierMfmaIndex:15, LocalWritePerMfma:0.900 */
/*  mfmaIndex:15  */
s_waitcnt lgkmcnt(0)                               // lgkmcnt=0 vmcnt=-13wait for local write
// Skip force waitcnt0
s_barrier //
s_waitcnt lgkmcnt(0)                               // lgkmcnt=0 vmcnt=-1wait for prior local read local write old=0, new=0 newLW=0 newLR=0
/* pack scheduling: packAIdx:2, packBIdx:0 */
v_or_b32 v[vgprValuA_X3_I0+0], v[vgprValuA_X3_I0+0], v94 // pack two half Vgpr to one Vgpr
v_or_b32 v[vgprValuA_X3_I0+1], v[vgprValuA_X3_I0+1], v95 // pack two half Vgpr to one Vgpr
	;; [unrolled: 1-line block ×4, first 2 shown]
v_mfma_f32_32x32x8bf16_1k a[0+0:15+0], v[vgprValuB_X2_I0+0+2+0:vgprValuB_X2_I0+0+2+0+1], v[vgprValuA_X3_I0+0+0+0:vgprValuA_X3_I0+0+0+0+1], a[0:15]
/*  mfmaIndex:16  */
_ds_load_u16 v[vgprValuA_X0_I0+0], v[vgprLocalReadAddrA] offset:0 // L -> Reg lro=0 swapByteOffset=0 ti=32 vIdx=0 rIdx=0 oIdx=0 buffer=0 iui=0
_ds_load_u16_d16_hi v84, v[vgprLocalReadAddrA] offset:320 // L -> Reg lro=0 swapByteOffset=0 ti=32 vIdx=0 rIdx=1 oIdx=0 buffer=0 iui=0
_ds_load_u16 v[vgprValuA_X0_I0+1], v[vgprLocalReadAddrA] offset:640 // L -> Reg lro=0 swapByteOffset=0 ti=32 vIdx=0 rIdx=2 oIdx=0 buffer=0 iui=0
_ds_load_u16_d16_hi v85, v[vgprLocalReadAddrA] offset:960 // L -> Reg lro=0 swapByteOffset=0 ti=32 vIdx=0 rIdx=3 oIdx=0 buffer=0 iui=0
_ds_load_b128 v[vgprValuB_X0_I0+0:vgprValuB_X0_I0+0+3], v[vgprLocalReadAddrB] offset:0 // L -> Reg lro=0 swapByteOffset=0 ti=128 vIdx=0 rIdx=0 oIdx=0 buffer=0 iui=0
_ds_load_u16 v[vgprValuA_X0_I0+2], v[vgprLocalReadAddrA] offset:64 // L -> Reg lro=0 swapByteOffset=0 ti=32 vIdx=1 rIdx=0 oIdx=0 buffer=0 iui=0
/* pack scheduling: packAIdx:4, packBIdx:0 */
v_or_b32 v[vgprValuA_X3_I0+4], v[vgprValuA_X3_I0+4], v98 // pack two half Vgpr to one Vgpr
v_or_b32 v[vgprValuA_X3_I0+5], v[vgprValuA_X3_I0+5], v99 // pack two half Vgpr to one Vgpr
	;; [unrolled: 1-line block ×4, first 2 shown]
v_mfma_f32_32x32x8bf16_1k a[16+0:31+0], v[vgprValuB_X2_I0+0+2+0:vgprValuB_X2_I0+0+2+0+1], v[vgprValuA_X3_I0+2+0+0:vgprValuA_X3_I0+2+0+0+1], a[16:31]
/*  mfmaIndex:17  */
_ds_load_u16_d16_hi v86, v[vgprLocalReadAddrA] offset:384 // L -> Reg lro=0 swapByteOffset=0 ti=32 vIdx=1 rIdx=1 oIdx=0 buffer=0 iui=0
_ds_load_u16 v[vgprValuA_X0_I0+3], v[vgprLocalReadAddrA] offset:704 // L -> Reg lro=0 swapByteOffset=0 ti=32 vIdx=1 rIdx=2 oIdx=0 buffer=0 iui=0
_ds_load_u16_d16_hi v87, v[vgprLocalReadAddrA] offset:1024 // L -> Reg lro=0 swapByteOffset=0 ti=32 vIdx=1 rIdx=3 oIdx=0 buffer=0 iui=0
_ds_load_u16 v[vgprValuA_X0_I0+4], v[vgprLocalReadAddrA] offset:128 // L -> Reg lro=0 swapByteOffset=0 ti=32 vIdx=2 rIdx=0 oIdx=0 buffer=0 iui=0
	;; [unrolled: 2-line block ×3, first 2 shown]
/* pack scheduling: packAIdx:6, packBIdx:0 */
v_or_b32 v[vgprValuA_X3_I0+8], v[vgprValuA_X3_I0+8], v102 // pack two half Vgpr to one Vgpr
v_or_b32 v[vgprValuA_X3_I0+9], v[vgprValuA_X3_I0+9], v103 // pack two half Vgpr to one Vgpr
v_mfma_f32_32x32x8bf16_1k a[32+0:47+0], v[vgprValuB_X2_I0+0+2+0:vgprValuB_X2_I0+0+2+0+1], v[vgprValuA_X3_I0+4+0+0:vgprValuA_X3_I0+4+0+0+1], a[32:47]
/*  mfmaIndex:18  */
_ds_load_u16_d16_hi v89, v[vgprLocalReadAddrA] offset:1088 // L -> Reg lro=0 swapByteOffset=0 ti=32 vIdx=2 rIdx=3 oIdx=0 buffer=0 iui=0
_ds_load_u16 v[vgprValuA_X0_I0+6], v[vgprLocalReadAddrA] offset:192 // L -> Reg lro=0 swapByteOffset=0 ti=32 vIdx=3 rIdx=0 oIdx=0 buffer=0 iui=0
_ds_load_u16_d16_hi v90, v[vgprLocalReadAddrA] offset:512 // L -> Reg lro=0 swapByteOffset=0 ti=32 vIdx=3 rIdx=1 oIdx=0 buffer=0 iui=0
_ds_load_u16 v[vgprValuA_X0_I0+7], v[vgprLocalReadAddrA] offset:832 // L -> Reg lro=0 swapByteOffset=0 ti=32 vIdx=3 rIdx=2 oIdx=0 buffer=0 iui=0
	;; [unrolled: 2-line block ×3, first 2 shown]
v_mfma_f32_32x32x8bf16_1k a[48+0:63+0], v[vgprValuB_X2_I0+0+2+0:vgprValuB_X2_I0+0+2+0+1], v[vgprValuA_X3_I0+6+0+0:vgprValuA_X3_I0+6+0+0+1], a[48:63]
/*  mfmaIndex:19  */
_ds_load_u16_d16_hi v92, v[vgprLocalReadAddrA] offset:576 // L -> Reg lro=0 swapByteOffset=0 ti=32 vIdx=4 rIdx=1 oIdx=0 buffer=0 iui=0
_ds_load_u16 v[vgprValuA_X0_I0+9], v[vgprLocalReadAddrA] offset:896 // L -> Reg lro=0 swapByteOffset=0 ti=32 vIdx=4 rIdx=2 oIdx=0 buffer=0 iui=0
_ds_load_u16_d16_hi v93, v[vgprLocalReadAddrA] offset:1216 // L -> Reg lro=0 swapByteOffset=0 ti=32 vIdx=4 rIdx=3 oIdx=0 buffer=0 iui=0
v_mfma_f32_32x32x8bf16_1k a[64+0:79+0], v[vgprValuB_X2_I0+0+2+0:vgprValuB_X2_I0+0+2+0+1], v[vgprValuA_X3_I0+8+0+0:vgprValuA_X3_I0+8+0+0+1], a[64:79]
/* numPrefetchIter=1 */
/* dataAtIterA=2 numReadsIterA=3 skipReadsIterA=1 readsPerIterA=20 */
/* dataAtIterB=0 numReadsIterB=1 skipReadsIterB=1 readsPerIterB=1 */


/******************************************/
/* Unrolled Loop - End                    */
/******************************************/


/* closeLoop loopL finalLoop=1 tailLoop=0 */
s_sub_u32 s[sgprLoopCounterL], s[sgprLoopCounterL], 1 // dec counterL
s_cmp_eq_i32 s[sgprLoopCounterL], 0x2              // counterL==2
s_cbranch_scc0 LoopBeginL_1                        // restart LoopL
LoopEndL_2:


/* Before NLL: Check VGPR.checkin for INT8 LW */


/******************************************/
/* Ord. NoGlobalLoadLoop - Begin                                      */
/******************************************/


	;; [unrolled: 1-line block ×3, first 2 shown]
/* iter 0 */

/*  grEndMfmaIndex:3, lwStartMfmaIndex:5, lwEndMfmaIndex:14  */
/*  numMfmaForLR:4, barrierMfmaIndex:15, LocalWritePerMfma:0.900 */
/*  mfmaIndex:0  */
s_waitcnt lgkmcnt(0)                               // lgkmcnt=0 vmcnt=-1wait for prior local read local write old=0, new=0 newLW=0 newLR=0
/* pack scheduling: packAIdx:2, packBIdx:0 */
v_or_b32 v[vgprValuA_X0_I0+0], v[vgprValuA_X0_I0+0], v84 // pack two half Vgpr to one Vgpr
v_or_b32 v[vgprValuA_X0_I0+1], v[vgprValuA_X0_I0+1], v85 // pack two half Vgpr to one Vgpr
	;; [unrolled: 1-line block ×4, first 2 shown]
v_mfma_f32_32x32x8bf16_1k a[0+0:15+0], v[vgprValuB_X0_I0+0+0+0:vgprValuB_X0_I0+0+0+0+1], v[vgprValuA_X0_I0+0+0+0:vgprValuA_X0_I0+0+0+0+1], a[0:15]
/*  mfmaIndex:1  */
_ds_load_u16 v[vgprValuA_X1_I0+0], v[vgprLocalReadAddrA] offset:1280 // L -> Reg lro=640 swapByteOffset=0 ti=32 vIdx=0 rIdx=0 oIdx=0 buffer=1 iui=0
_ds_load_u16_d16_hi v94, v[vgprLocalReadAddrA] offset:1600 // L -> Reg lro=640 swapByteOffset=0 ti=32 vIdx=0 rIdx=1 oIdx=0 buffer=1 iui=0
_ds_load_u16 v[vgprValuA_X1_I0+1], v[vgprLocalReadAddrA] offset:1920 // L -> Reg lro=640 swapByteOffset=0 ti=32 vIdx=0 rIdx=2 oIdx=0 buffer=1 iui=0
_ds_load_u16_d16_hi v95, v[vgprLocalReadAddrA] offset:2240 // L -> Reg lro=640 swapByteOffset=0 ti=32 vIdx=0 rIdx=3 oIdx=0 buffer=1 iui=0
_ds_load_b128 v[vgprValuB_X2_I0+0:vgprValuB_X2_I0+0+3], v[vgprLocalReadAddrB] offset:32 // L -> Reg lro=16 swapByteOffset=0 ti=128 vIdx=0 rIdx=0 oIdx=0 buffer=2 iui=0
_ds_load_u16 v[vgprValuA_X1_I0+2], v[vgprLocalReadAddrA] offset:1344 // L -> Reg lro=640 swapByteOffset=0 ti=32 vIdx=1 rIdx=0 oIdx=0 buffer=1 iui=0

/* global read inc A loopL */
s_cmp_eq_u32 s[sgprLoopCounterL], s[sgprStaggerUIter] // Is this the wrapIter?
s_cselect_b32 s64, s[sgprWrapUA+0], s[sgprGlobalReadIncsA+0] // incLower <- ?
s_cselect_b32 s65, s[sgprWrapUA+1], 0              // incUpper <- ?
s_add_u32 s[sgprSrdA+0], s[sgprSrdA+0], s64        // gra SRD += inc(lower)
s_addc_u32  s[sgprSrdA+1], s[sgprSrdA+1], s65      // gra SRD += inc(upper)
s_sub_u32 s[sgprShadowLimitA+0], s[sgprShadowLimitA+0], s64 // limit -= inc)
s_subb_u32 s[sgprShadowLimitA+1], s[sgprShadowLimitA+1], s65 // limit -= inc)
/* pack scheduling: packAIdx:4, packBIdx:0 */
v_or_b32 v[vgprValuA_X0_I0+4], v[vgprValuA_X0_I0+4], v88 // pack two half Vgpr to one Vgpr
v_or_b32 v[vgprValuA_X0_I0+5], v[vgprValuA_X0_I0+5], v89 // pack two half Vgpr to one Vgpr
	;; [unrolled: 1-line block ×4, first 2 shown]
v_mfma_f32_32x32x8bf16_1k a[16+0:31+0], v[vgprValuB_X0_I0+0+0+0:vgprValuB_X0_I0+0+0+0+1], v[vgprValuA_X0_I0+2+0+0:vgprValuA_X0_I0+2+0+0+1], a[16:31]
/*  mfmaIndex:2  */
_ds_load_u16_d16_hi v96, v[vgprLocalReadAddrA] offset:1664 // L -> Reg lro=640 swapByteOffset=0 ti=32 vIdx=1 rIdx=1 oIdx=0 buffer=1 iui=0
_ds_load_u16 v[vgprValuA_X1_I0+3], v[vgprLocalReadAddrA] offset:1984 // L -> Reg lro=640 swapByteOffset=0 ti=32 vIdx=1 rIdx=2 oIdx=0 buffer=1 iui=0
_ds_load_u16_d16_hi v97, v[vgprLocalReadAddrA] offset:2304 // L -> Reg lro=640 swapByteOffset=0 ti=32 vIdx=1 rIdx=3 oIdx=0 buffer=1 iui=0
_ds_load_u16 v[vgprValuA_X1_I0+4], v[vgprLocalReadAddrA] offset:1408 // L -> Reg lro=640 swapByteOffset=0 ti=32 vIdx=2 rIdx=0 oIdx=0 buffer=1 iui=0
	;; [unrolled: 2-line block ×3, first 2 shown]
s_cmp_eq_u32 s[sgprShadowLimitA+1], 0              // are we within 2^32?
s_cselect_b32 s[sgprSrdA+2], s[sgprShadowLimitA+0], BufferLimitA // Move shadow to real if we are within 2^32

/* global read inc B loopL */
s_cmp_eq_u32 s[sgprLoopCounterL], s[sgprStaggerUIter] // Is this the wrapIter?
s_cselect_b32 s64, s[sgprWrapUB+0], s[sgprGlobalReadIncsB+0] // incLower <- ?
s_cselect_b32 s65, s[sgprWrapUB+1], 0              // incUpper <- ?
s_add_u32 s[sgprSrdB+0], s[sgprSrdB+0], s64        // gra SRD += inc(lower)
s_addc_u32  s[sgprSrdB+1], s[sgprSrdB+1], s65      // gra SRD += inc(upper)
/* pack scheduling: packAIdx:6, packBIdx:0 */
v_or_b32 v[vgprValuA_X0_I0+8], v[vgprValuA_X0_I0+8], v92 // pack two half Vgpr to one Vgpr
v_or_b32 v[vgprValuA_X0_I0+9], v[vgprValuA_X0_I0+9], v93 // pack two half Vgpr to one Vgpr
v_mfma_f32_32x32x8bf16_1k a[32+0:47+0], v[vgprValuB_X0_I0+0+0+0:vgprValuB_X0_I0+0+0+0+1], v[vgprValuA_X0_I0+4+0+0:vgprValuA_X0_I0+4+0+0+1], a[32:47]
/*  mfmaIndex:3  */
_ds_load_u16_d16_hi v99, v[vgprLocalReadAddrA] offset:2368 // L -> Reg lro=640 swapByteOffset=0 ti=32 vIdx=2 rIdx=3 oIdx=0 buffer=1 iui=0
_ds_load_u16 v[vgprValuA_X1_I0+6], v[vgprLocalReadAddrA] offset:1472 // L -> Reg lro=640 swapByteOffset=0 ti=32 vIdx=3 rIdx=0 oIdx=0 buffer=1 iui=0
_ds_load_u16_d16_hi v100, v[vgprLocalReadAddrA] offset:1792 // L -> Reg lro=640 swapByteOffset=0 ti=32 vIdx=3 rIdx=1 oIdx=0 buffer=1 iui=0
_ds_load_u16 v[vgprValuA_X1_I0+7], v[vgprLocalReadAddrA] offset:2112 // L -> Reg lro=640 swapByteOffset=0 ti=32 vIdx=3 rIdx=2 oIdx=0 buffer=1 iui=0
	;; [unrolled: 2-line block ×3, first 2 shown]
s_sub_u32 s[sgprShadowLimitB+0], s[sgprShadowLimitB+0], s64 // limit -= inc)
s_subb_u32 s[sgprShadowLimitB+1], s[sgprShadowLimitB+1], s65 // limit -= inc)
s_cmp_eq_u32 s[sgprShadowLimitB+1], 0              // are we within 2^32?
s_cselect_b32 s[sgprSrdB+2], s[sgprShadowLimitB+0], BufferLimitB // Move shadow to real if we are within 2^32
v_mfma_f32_32x32x8bf16_1k a[48+0:63+0], v[vgprValuB_X0_I0+0+0+0:vgprValuB_X0_I0+0+0+0+1], v[vgprValuA_X0_I0+6+0+0:vgprValuA_X0_I0+6+0+0+1], a[48:63]
/*  mfmaIndex:4  */
_ds_load_u16_d16_hi v102, v[vgprLocalReadAddrA] offset:1856 // L -> Reg lro=640 swapByteOffset=0 ti=32 vIdx=4 rIdx=1 oIdx=0 buffer=1 iui=0
_ds_load_u16 v[vgprValuA_X1_I0+9], v[vgprLocalReadAddrA] offset:2176 // L -> Reg lro=640 swapByteOffset=0 ti=32 vIdx=4 rIdx=2 oIdx=0 buffer=1 iui=0
_ds_load_u16_d16_hi v103, v[vgprLocalReadAddrA] offset:2496 // L -> Reg lro=640 swapByteOffset=0 ti=32 vIdx=4 rIdx=3 oIdx=0 buffer=1 iui=0
/* localReadsVacancy: latencyLeft 7 */
_ds_load_u16 v[vgprValuA_X2_I0+0], v[vgprLocalReadAddrA] offset:5120 // L -> Reg lro=2560 swapByteOffset=0 ti=32 vIdx=0 rIdx=0 oIdx=0 buffer=2 iui=0
_ds_load_u16 v[vgprValuA_X2_I0+1], v[vgprLocalReadAddrA] offset:5760 // L -> Reg lro=2560 swapByteOffset=0 ti=32 vIdx=0 rIdx=2 oIdx=0 buffer=2 iui=0
_ds_load_u16 v[vgprValuA_X2_I0+2], v[vgprLocalReadAddrA] offset:5184 // L -> Reg lro=2560 swapByteOffset=0 ti=32 vIdx=1 rIdx=0 oIdx=0 buffer=2 iui=0
v_mfma_f32_32x32x8bf16_1k a[64+0:79+0], v[vgprValuB_X0_I0+0+0+0:vgprValuB_X0_I0+0+0+0+1], v[vgprValuA_X0_I0+8+0+0:vgprValuA_X0_I0+8+0+0+1], a[64:79]
/* numPrefetchIter=0 */
/* dataAtIterA=-1 numReadsIterA=1 skipReadsIterA=1 readsPerIterA=20 */
/* dataAtIterB=-1 numReadsIterB=1 skipReadsIterB=1 readsPerIterB=1 */


/* iter 1 */

/*  grEndMfmaIndex:3, lwStartMfmaIndex:5, lwEndMfmaIndex:14  */
/*  numMfmaForLR:4, barrierMfmaIndex:15, LocalWritePerMfma:0.900 */
/*  mfmaIndex:5  */
_ds_load_u16_d16_hi v84, v[vgprLocalReadAddrA] offset:5440 // L -> Reg lro=2560 swapByteOffset=0 ti=32 vIdx=0 rIdx=1 oIdx=0 buffer=2 iui=0
_ds_load_u16_d16_hi v85, v[vgprLocalReadAddrA] offset:6080 // L -> Reg lro=2560 swapByteOffset=0 ti=32 vIdx=0 rIdx=3 oIdx=0 buffer=2 iui=0
	;; [unrolled: 1-line block ×3, first 2 shown]
_ds_load_u16 v[vgprValuA_X2_I0+3], v[vgprLocalReadAddrA] offset:5824 // L -> Reg lro=2560 swapByteOffset=0 ti=32 vIdx=1 rIdx=2 oIdx=0 buffer=2 iui=0
/* sched write - iter 1 writesPerItem=1 */
s_waitcnt vmcnt(0)                                 // lgkmcnt=-1 vmcnt=0wait for global read before writing to local
v_cvt_f32_f16 v[vgprG2Lpipe0], v[vgprG2LA+0]       // 
v_cmp_u_f32 s[sgprFp16AltNanCheck:sgprFp16AltNanCheck+1], v[vgprG2Lpipe0], v[vgprG2Lpipe0] // check NaN
v_add_u32 v[vgprFp16AltTmp], s[sgprFp16AltOffset], v[vgprG2Lpipe0] // 
v_cndmask_b32 v[vgprG2Lpipe0], v[vgprFp16AltTmp], v[vgprG2Lpipe0], s[sgprFp16AltNanCheck:sgprFp16AltNanCheck+1] // 
v_cvt_f32_f16 v[vgprG2Lpipe1], v[vgprG2LA+0], src0_sel:WORD_1 // 
v_cmp_u_f32 s[sgprFp16AltNanCheck:sgprFp16AltNanCheck+1], v[vgprG2Lpipe1], v[vgprG2Lpipe1] // check NaN
v_add_u32 v[vgprFp16AltTmp], s[sgprFp16AltOffset], v[vgprG2Lpipe1] // 
v_cndmask_b32 v[vgprG2Lpipe1], v[vgprFp16AltTmp], v[vgprG2Lpipe1], s[sgprFp16AltNanCheck:sgprFp16AltNanCheck+1] // 
v_pack_b32_f16 v[vgprG2LA+0], v[vgprG2Lpipe0], v[vgprG2Lpipe1], op_sel:[1,1,0] // 
v_cvt_f32_f16 v[vgprG2Lpipe0], v[vgprG2LA+1]       // 
v_cmp_u_f32 s[sgprFp16AltNanCheck:sgprFp16AltNanCheck+1], v[vgprG2Lpipe0], v[vgprG2Lpipe0] // check NaN
v_add_u32 v[vgprFp16AltTmp], s[sgprFp16AltOffset], v[vgprG2Lpipe0] // 
v_cndmask_b32 v[vgprG2Lpipe0], v[vgprFp16AltTmp], v[vgprG2Lpipe0], s[sgprFp16AltNanCheck:sgprFp16AltNanCheck+1] // 
v_cvt_f32_f16 v[vgprG2Lpipe1], v[vgprG2LA+1], src0_sel:WORD_1 // 
v_cmp_u_f32 s[sgprFp16AltNanCheck:sgprFp16AltNanCheck+1], v[vgprG2Lpipe1], v[vgprG2Lpipe1] // check NaN
v_add_u32 v[vgprFp16AltTmp], s[sgprFp16AltOffset], v[vgprG2Lpipe1] // 
v_cndmask_b32 v[vgprG2Lpipe1], v[vgprFp16AltTmp], v[vgprG2Lpipe1], s[sgprFp16AltNanCheck:sgprFp16AltNanCheck+1] // 
v_pack_b32_f16 v[vgprG2LA+1], v[vgprG2Lpipe0], v[vgprG2Lpipe1], op_sel:[1,1,0] // 
_ds_store_b64 v[vgprLocalWriteAddrA], v[vgprG2LA+0:vgprG2LA+0+1] offset:0 // lwoA_0_0_0_0 = (0*LSCA) + (0*LSPA)(*MT0I+PAD) = 0
s_waitcnt lgkmcnt(8)                               // lgkmcnt=0 vmcnt=-1wait for prior local read local write old=3, new=8 newLW=1 newLR=4
/* pack scheduling: packAIdx:2, packBIdx:0 */
v_or_b32 v[vgprValuA_X1_I0+0], v[vgprValuA_X1_I0+0], v94 // pack two half Vgpr to one Vgpr
v_or_b32 v[vgprValuA_X1_I0+1], v[vgprValuA_X1_I0+1], v95 // pack two half Vgpr to one Vgpr
	;; [unrolled: 1-line block ×4, first 2 shown]
v_mfma_f32_32x32x8bf16_1k a[0+0:15+0], v[vgprValuB_X0_I0+0+2+0:vgprValuB_X0_I0+0+2+0+1], v[vgprValuA_X1_I0+0+0+0:vgprValuA_X1_I0+0+0+0+1], a[0:15]
/*  mfmaIndex:6  */
_ds_load_u16_d16_hi v87, v[vgprLocalReadAddrA] offset:6144 // L -> Reg lro=2560 swapByteOffset=0 ti=32 vIdx=1 rIdx=3 oIdx=0 buffer=2 iui=0
_ds_load_u16 v[vgprValuA_X2_I0+4], v[vgprLocalReadAddrA] offset:5248 // L -> Reg lro=2560 swapByteOffset=0 ti=32 vIdx=2 rIdx=0 oIdx=0 buffer=2 iui=0
_ds_load_u16_d16_hi v88, v[vgprLocalReadAddrA] offset:5568 // L -> Reg lro=2560 swapByteOffset=0 ti=32 vIdx=2 rIdx=1 oIdx=0 buffer=2 iui=0
_ds_load_u16 v[vgprValuA_X2_I0+5], v[vgprLocalReadAddrA] offset:5888 // L -> Reg lro=2560 swapByteOffset=0 ti=32 vIdx=2 rIdx=2 oIdx=0 buffer=2 iui=0
/* sched write - iter 1 writesPerItem=1 */
s_waitcnt vmcnt(0)                                 // lgkmcnt=-1 vmcnt=0wait for global read before writing to local
v_cvt_f32_f16 v[vgprG2Lpipe0], v[vgprG2LA+2]       // 
v_cmp_u_f32 s[sgprFp16AltNanCheck:sgprFp16AltNanCheck+1], v[vgprG2Lpipe0], v[vgprG2Lpipe0] // check NaN
v_add_u32 v[vgprFp16AltTmp], s[sgprFp16AltOffset], v[vgprG2Lpipe0] // 
v_cndmask_b32 v[vgprG2Lpipe0], v[vgprFp16AltTmp], v[vgprG2Lpipe0], s[sgprFp16AltNanCheck:sgprFp16AltNanCheck+1] // 
v_cvt_f32_f16 v[vgprG2Lpipe1], v[vgprG2LA+2], src0_sel:WORD_1 // 
v_cmp_u_f32 s[sgprFp16AltNanCheck:sgprFp16AltNanCheck+1], v[vgprG2Lpipe1], v[vgprG2Lpipe1] // check NaN
v_add_u32 v[vgprFp16AltTmp], s[sgprFp16AltOffset], v[vgprG2Lpipe1] // 
v_cndmask_b32 v[vgprG2Lpipe1], v[vgprFp16AltTmp], v[vgprG2Lpipe1], s[sgprFp16AltNanCheck:sgprFp16AltNanCheck+1] // 
v_pack_b32_f16 v[vgprG2LA+2], v[vgprG2Lpipe0], v[vgprG2Lpipe1], op_sel:[1,1,0] // 
v_cvt_f32_f16 v[vgprG2Lpipe0], v[vgprG2LA+3]       // 
v_cmp_u_f32 s[sgprFp16AltNanCheck:sgprFp16AltNanCheck+1], v[vgprG2Lpipe0], v[vgprG2Lpipe0] // check NaN
v_add_u32 v[vgprFp16AltTmp], s[sgprFp16AltOffset], v[vgprG2Lpipe0] // 
v_cndmask_b32 v[vgprG2Lpipe0], v[vgprFp16AltTmp], v[vgprG2Lpipe0], s[sgprFp16AltNanCheck:sgprFp16AltNanCheck+1] // 
v_cvt_f32_f16 v[vgprG2Lpipe1], v[vgprG2LA+3], src0_sel:WORD_1 // 
v_cmp_u_f32 s[sgprFp16AltNanCheck:sgprFp16AltNanCheck+1], v[vgprG2Lpipe1], v[vgprG2Lpipe1] // check NaN
v_add_u32 v[vgprFp16AltTmp], s[sgprFp16AltOffset], v[vgprG2Lpipe1] // 
v_cndmask_b32 v[vgprG2Lpipe1], v[vgprFp16AltTmp], v[vgprG2Lpipe1], s[sgprFp16AltNanCheck:sgprFp16AltNanCheck+1] // 
v_pack_b32_f16 v[vgprG2LA+3], v[vgprG2Lpipe0], v[vgprG2Lpipe1], op_sel:[1,1,0] // 
_ds_store_b64 v[vgprLocalWriteAddrA], v[vgprG2LA+2:vgprG2LA+2+1] offset:64 // lwoA_1_0_0_0 = (1*LSCA) + (0*LSPA)(*MT0I+PAD) = 64
/* pack scheduling: packAIdx:4, packBIdx:0 */
v_or_b32 v[vgprValuA_X1_I0+4], v[vgprValuA_X1_I0+4], v98 // pack two half Vgpr to one Vgpr
v_or_b32 v[vgprValuA_X1_I0+5], v[vgprValuA_X1_I0+5], v99 // pack two half Vgpr to one Vgpr
	;; [unrolled: 1-line block ×4, first 2 shown]
v_mfma_f32_32x32x8bf16_1k a[16+0:31+0], v[vgprValuB_X0_I0+0+2+0:vgprValuB_X0_I0+0+2+0+1], v[vgprValuA_X1_I0+2+0+0:vgprValuA_X1_I0+2+0+0+1], a[16:31]
/*  mfmaIndex:7  */
_ds_load_u16_d16_hi v89, v[vgprLocalReadAddrA] offset:6208 // L -> Reg lro=2560 swapByteOffset=0 ti=32 vIdx=2 rIdx=3 oIdx=0 buffer=2 iui=0
_ds_load_u16 v[vgprValuA_X2_I0+6], v[vgprLocalReadAddrA] offset:5312 // L -> Reg lro=2560 swapByteOffset=0 ti=32 vIdx=3 rIdx=0 oIdx=0 buffer=2 iui=0
_ds_load_u16_d16_hi v90, v[vgprLocalReadAddrA] offset:5632 // L -> Reg lro=2560 swapByteOffset=0 ti=32 vIdx=3 rIdx=1 oIdx=0 buffer=2 iui=0
/* sched write - iter 1 writesPerItem=1 */
s_waitcnt vmcnt(0)                                 // lgkmcnt=-1 vmcnt=0wait for global read before writing to local
v_cvt_f32_f16 v[vgprG2Lpipe0], v[vgprG2LA+4]       // 
v_cmp_u_f32 s[sgprFp16AltNanCheck:sgprFp16AltNanCheck+1], v[vgprG2Lpipe0], v[vgprG2Lpipe0] // check NaN
v_add_u32 v[vgprFp16AltTmp], s[sgprFp16AltOffset], v[vgprG2Lpipe0] // 
v_cndmask_b32 v[vgprG2Lpipe0], v[vgprFp16AltTmp], v[vgprG2Lpipe0], s[sgprFp16AltNanCheck:sgprFp16AltNanCheck+1] // 
v_cvt_f32_f16 v[vgprG2Lpipe1], v[vgprG2LA+4], src0_sel:WORD_1 // 
v_cmp_u_f32 s[sgprFp16AltNanCheck:sgprFp16AltNanCheck+1], v[vgprG2Lpipe1], v[vgprG2Lpipe1] // check NaN
v_add_u32 v[vgprFp16AltTmp], s[sgprFp16AltOffset], v[vgprG2Lpipe1] // 
v_cndmask_b32 v[vgprG2Lpipe1], v[vgprFp16AltTmp], v[vgprG2Lpipe1], s[sgprFp16AltNanCheck:sgprFp16AltNanCheck+1] // 
v_pack_b32_f16 v[vgprG2LA+4], v[vgprG2Lpipe0], v[vgprG2Lpipe1], op_sel:[1,1,0] // 
v_cvt_f32_f16 v[vgprG2Lpipe0], v[vgprG2LA+5]       // 
v_cmp_u_f32 s[sgprFp16AltNanCheck:sgprFp16AltNanCheck+1], v[vgprG2Lpipe0], v[vgprG2Lpipe0] // check NaN
v_add_u32 v[vgprFp16AltTmp], s[sgprFp16AltOffset], v[vgprG2Lpipe0] // 
v_cndmask_b32 v[vgprG2Lpipe0], v[vgprFp16AltTmp], v[vgprG2Lpipe0], s[sgprFp16AltNanCheck:sgprFp16AltNanCheck+1] // 
v_cvt_f32_f16 v[vgprG2Lpipe1], v[vgprG2LA+5], src0_sel:WORD_1 // 
v_cmp_u_f32 s[sgprFp16AltNanCheck:sgprFp16AltNanCheck+1], v[vgprG2Lpipe1], v[vgprG2Lpipe1] // check NaN
v_add_u32 v[vgprFp16AltTmp], s[sgprFp16AltOffset], v[vgprG2Lpipe1] // 
v_cndmask_b32 v[vgprG2Lpipe1], v[vgprFp16AltTmp], v[vgprG2Lpipe1], s[sgprFp16AltNanCheck:sgprFp16AltNanCheck+1] // 
v_pack_b32_f16 v[vgprG2LA+5], v[vgprG2Lpipe0], v[vgprG2Lpipe1], op_sel:[1,1,0] // 
_ds_store_b64 v[vgprLocalWriteAddrA], v[vgprG2LA+4:vgprG2LA+4+1] offset:128 // lwoA_2_0_0_0 = (2*LSCA) + (0*LSPA)(*MT0I+PAD) = 128
/* pack scheduling: packAIdx:6, packBIdx:0 */
v_or_b32 v[vgprValuA_X1_I0+8], v[vgprValuA_X1_I0+8], v102 // pack two half Vgpr to one Vgpr
v_or_b32 v[vgprValuA_X1_I0+9], v[vgprValuA_X1_I0+9], v103 // pack two half Vgpr to one Vgpr
v_mfma_f32_32x32x8bf16_1k a[32+0:47+0], v[vgprValuB_X0_I0+0+2+0:vgprValuB_X0_I0+0+2+0+1], v[vgprValuA_X1_I0+4+0+0:vgprValuA_X1_I0+4+0+0+1], a[32:47]
/*  mfmaIndex:8  */
_ds_load_u16 v[vgprValuA_X2_I0+7], v[vgprLocalReadAddrA] offset:5952 // L -> Reg lro=2560 swapByteOffset=0 ti=32 vIdx=3 rIdx=2 oIdx=0 buffer=2 iui=0
_ds_load_u16_d16_hi v91, v[vgprLocalReadAddrA] offset:6272 // L -> Reg lro=2560 swapByteOffset=0 ti=32 vIdx=3 rIdx=3 oIdx=0 buffer=2 iui=0
_ds_load_u16 v[vgprValuA_X2_I0+8], v[vgprLocalReadAddrA] offset:5376 // L -> Reg lro=2560 swapByteOffset=0 ti=32 vIdx=4 rIdx=0 oIdx=0 buffer=2 iui=0
/* sched write - iter 1 writesPerItem=1 */
s_waitcnt vmcnt(0)                                 // lgkmcnt=-1 vmcnt=0wait for global read before writing to local
v_cvt_f32_f16 v[vgprG2Lpipe0], v[vgprG2LA+6]       // 
v_cmp_u_f32 s[sgprFp16AltNanCheck:sgprFp16AltNanCheck+1], v[vgprG2Lpipe0], v[vgprG2Lpipe0] // check NaN
v_add_u32 v[vgprFp16AltTmp], s[sgprFp16AltOffset], v[vgprG2Lpipe0] // 
v_cndmask_b32 v[vgprG2Lpipe0], v[vgprFp16AltTmp], v[vgprG2Lpipe0], s[sgprFp16AltNanCheck:sgprFp16AltNanCheck+1] // 
v_cvt_f32_f16 v[vgprG2Lpipe1], v[vgprG2LA+6], src0_sel:WORD_1 // 
v_cmp_u_f32 s[sgprFp16AltNanCheck:sgprFp16AltNanCheck+1], v[vgprG2Lpipe1], v[vgprG2Lpipe1] // check NaN
v_add_u32 v[vgprFp16AltTmp], s[sgprFp16AltOffset], v[vgprG2Lpipe1] // 
v_cndmask_b32 v[vgprG2Lpipe1], v[vgprFp16AltTmp], v[vgprG2Lpipe1], s[sgprFp16AltNanCheck:sgprFp16AltNanCheck+1] // 
v_pack_b32_f16 v[vgprG2LA+6], v[vgprG2Lpipe0], v[vgprG2Lpipe1], op_sel:[1,1,0] // 
v_cvt_f32_f16 v[vgprG2Lpipe0], v[vgprG2LA+7]       // 
v_cmp_u_f32 s[sgprFp16AltNanCheck:sgprFp16AltNanCheck+1], v[vgprG2Lpipe0], v[vgprG2Lpipe0] // check NaN
v_add_u32 v[vgprFp16AltTmp], s[sgprFp16AltOffset], v[vgprG2Lpipe0] // 
v_cndmask_b32 v[vgprG2Lpipe0], v[vgprFp16AltTmp], v[vgprG2Lpipe0], s[sgprFp16AltNanCheck:sgprFp16AltNanCheck+1] // 
v_cvt_f32_f16 v[vgprG2Lpipe1], v[vgprG2LA+7], src0_sel:WORD_1 // 
v_cmp_u_f32 s[sgprFp16AltNanCheck:sgprFp16AltNanCheck+1], v[vgprG2Lpipe1], v[vgprG2Lpipe1] // check NaN
v_add_u32 v[vgprFp16AltTmp], s[sgprFp16AltOffset], v[vgprG2Lpipe1] // 
v_cndmask_b32 v[vgprG2Lpipe1], v[vgprFp16AltTmp], v[vgprG2Lpipe1], s[sgprFp16AltNanCheck:sgprFp16AltNanCheck+1] // 
v_pack_b32_f16 v[vgprG2LA+7], v[vgprG2Lpipe0], v[vgprG2Lpipe1], op_sel:[1,1,0] // 
_ds_store_b64 v[vgprLocalWriteAddrA], v[vgprG2LA+6:vgprG2LA+6+1] offset:192 // lwoA_3_0_0_0 = (3*LSCA) + (0*LSPA)(*MT0I+PAD) = 192
v_mfma_f32_32x32x8bf16_1k a[48+0:63+0], v[vgprValuB_X0_I0+0+2+0:vgprValuB_X0_I0+0+2+0+1], v[vgprValuA_X1_I0+6+0+0:vgprValuA_X1_I0+6+0+0+1], a[48:63]
/*  mfmaIndex:9  */
_ds_load_u16_d16_hi v92, v[vgprLocalReadAddrA] offset:5696 // L -> Reg lro=2560 swapByteOffset=0 ti=32 vIdx=4 rIdx=1 oIdx=0 buffer=2 iui=0
_ds_load_u16 v[vgprValuA_X2_I0+9], v[vgprLocalReadAddrA] offset:6016 // L -> Reg lro=2560 swapByteOffset=0 ti=32 vIdx=4 rIdx=2 oIdx=0 buffer=2 iui=0
_ds_load_u16_d16_hi v93, v[vgprLocalReadAddrA] offset:6336 // L -> Reg lro=2560 swapByteOffset=0 ti=32 vIdx=4 rIdx=3 oIdx=0 buffer=2 iui=0
/* localReadsVacancy: latencyLeft 1 */
/* sched write - iter 1 writesPerItem=1 */
s_waitcnt vmcnt(0)                                 // lgkmcnt=-1 vmcnt=0wait for global read before writing to local
v_cvt_f32_f16 v[vgprG2Lpipe0], v[vgprG2LA+8]       // 
v_cmp_u_f32 s[sgprFp16AltNanCheck:sgprFp16AltNanCheck+1], v[vgprG2Lpipe0], v[vgprG2Lpipe0] // check NaN
v_add_u32 v[vgprFp16AltTmp], s[sgprFp16AltOffset], v[vgprG2Lpipe0] // 
v_cndmask_b32 v[vgprG2Lpipe0], v[vgprFp16AltTmp], v[vgprG2Lpipe0], s[sgprFp16AltNanCheck:sgprFp16AltNanCheck+1] // 
v_cvt_f32_f16 v[vgprG2Lpipe1], v[vgprG2LA+8], src0_sel:WORD_1 // 
v_cmp_u_f32 s[sgprFp16AltNanCheck:sgprFp16AltNanCheck+1], v[vgprG2Lpipe1], v[vgprG2Lpipe1] // check NaN
v_add_u32 v[vgprFp16AltTmp], s[sgprFp16AltOffset], v[vgprG2Lpipe1] // 
v_cndmask_b32 v[vgprG2Lpipe1], v[vgprFp16AltTmp], v[vgprG2Lpipe1], s[sgprFp16AltNanCheck:sgprFp16AltNanCheck+1] // 
v_pack_b32_f16 v[vgprG2LA+8], v[vgprG2Lpipe0], v[vgprG2Lpipe1], op_sel:[1,1,0] // 
v_cvt_f32_f16 v[vgprG2Lpipe0], v[vgprG2LA+9]       // 
v_cmp_u_f32 s[sgprFp16AltNanCheck:sgprFp16AltNanCheck+1], v[vgprG2Lpipe0], v[vgprG2Lpipe0] // check NaN
v_add_u32 v[vgprFp16AltTmp], s[sgprFp16AltOffset], v[vgprG2Lpipe0] // 
v_cndmask_b32 v[vgprG2Lpipe0], v[vgprFp16AltTmp], v[vgprG2Lpipe0], s[sgprFp16AltNanCheck:sgprFp16AltNanCheck+1] // 
v_cvt_f32_f16 v[vgprG2Lpipe1], v[vgprG2LA+9], src0_sel:WORD_1 // 
v_cmp_u_f32 s[sgprFp16AltNanCheck:sgprFp16AltNanCheck+1], v[vgprG2Lpipe1], v[vgprG2Lpipe1] // check NaN
v_add_u32 v[vgprFp16AltTmp], s[sgprFp16AltOffset], v[vgprG2Lpipe1] // 
v_cndmask_b32 v[vgprG2Lpipe1], v[vgprFp16AltTmp], v[vgprG2Lpipe1], s[sgprFp16AltNanCheck:sgprFp16AltNanCheck+1] // 
v_pack_b32_f16 v[vgprG2LA+9], v[vgprG2Lpipe0], v[vgprG2Lpipe1], op_sel:[1,1,0] // 
_ds_store_b64 v[vgprLocalWriteAddrA], v[vgprG2LA+8:vgprG2LA+8+1] offset:256 // lwoA_4_0_0_0 = (4*LSCA) + (0*LSPA)(*MT0I+PAD) = 256
v_mfma_f32_32x32x8bf16_1k a[64+0:79+0], v[vgprValuB_X0_I0+0+2+0:vgprValuB_X0_I0+0+2+0+1], v[vgprValuA_X1_I0+8+0+0:vgprValuA_X1_I0+8+0+0+1], a[64:79]
/* numPrefetchIter=0 */
/* dataAtIterA=0 numReadsIterA=2 skipReadsIterA=1 readsPerIterA=20 */
/* dataAtIterB=-1 numReadsIterB=1 skipReadsIterB=0 readsPerIterB=1 */


/* iter 2 (reset local read pointers iteration)  (swap and reset local write pointers iteration)  (swap local read pointers iteration)  */

/*  grEndMfmaIndex:3, lwStartMfmaIndex:5, lwEndMfmaIndex:14  */
/*  numMfmaForLR:4, barrierMfmaIndex:15, LocalWritePerMfma:0.900 */
/*  mfmaIndex:10  */
_ds_load_u16 v[vgprValuA_X3_I0+0], v[vgprLocalReadAddrA] offset:6400 // L -> Reg lro=3200 swapByteOffset=0 ti=32 vIdx=0 rIdx=0 oIdx=0 buffer=3 iui=0
_ds_load_u16_d16_hi v94, v[vgprLocalReadAddrA] offset:6720 // L -> Reg lro=3200 swapByteOffset=0 ti=32 vIdx=0 rIdx=1 oIdx=0 buffer=3 iui=0
_ds_load_u16 v[vgprValuA_X3_I0+1], v[vgprLocalReadAddrA] offset:7040 // L -> Reg lro=3200 swapByteOffset=0 ti=32 vIdx=0 rIdx=2 oIdx=0 buffer=3 iui=0
_ds_load_u16_d16_hi v95, v[vgprLocalReadAddrA] offset:7360 // L -> Reg lro=3200 swapByteOffset=0 ti=32 vIdx=0 rIdx=3 oIdx=0 buffer=3 iui=0
/* sched write - iter 2 writesPerItem=1 */
s_waitcnt vmcnt(0)                                 // lgkmcnt=-1 vmcnt=0wait for global read before writing to local
v_cvt_f32_f16 v[vgprG2Lpipe0], v[vgprG2LB+0]       // 
v_cmp_u_f32 s[sgprFp16AltNanCheck:sgprFp16AltNanCheck+1], v[vgprG2Lpipe0], v[vgprG2Lpipe0] // check NaN
v_add_u32 v[vgprFp16AltTmp], s[sgprFp16AltOffset], v[vgprG2Lpipe0] // 
v_cndmask_b32 v[vgprG2Lpipe0], v[vgprFp16AltTmp], v[vgprG2Lpipe0], s[sgprFp16AltNanCheck:sgprFp16AltNanCheck+1] // 
v_cvt_f32_f16 v[vgprG2Lpipe1], v[vgprG2LB+0], src0_sel:WORD_1 // 
v_cmp_u_f32 s[sgprFp16AltNanCheck:sgprFp16AltNanCheck+1], v[vgprG2Lpipe1], v[vgprG2Lpipe1] // check NaN
v_add_u32 v[vgprFp16AltTmp], s[sgprFp16AltOffset], v[vgprG2Lpipe1] // 
v_cndmask_b32 v[vgprG2Lpipe1], v[vgprFp16AltTmp], v[vgprG2Lpipe1], s[sgprFp16AltNanCheck:sgprFp16AltNanCheck+1] // 
v_pack_b32_f16 v[vgprG2LB+0], v[vgprG2Lpipe0], v[vgprG2Lpipe1], op_sel:[1,1,0] // 
v_cvt_f32_f16 v[vgprG2Lpipe0], v[vgprG2LB+1]       // 
v_cmp_u_f32 s[sgprFp16AltNanCheck:sgprFp16AltNanCheck+1], v[vgprG2Lpipe0], v[vgprG2Lpipe0] // check NaN
v_add_u32 v[vgprFp16AltTmp], s[sgprFp16AltOffset], v[vgprG2Lpipe0] // 
v_cndmask_b32 v[vgprG2Lpipe0], v[vgprFp16AltTmp], v[vgprG2Lpipe0], s[sgprFp16AltNanCheck:sgprFp16AltNanCheck+1] // 
v_cvt_f32_f16 v[vgprG2Lpipe1], v[vgprG2LB+1], src0_sel:WORD_1 // 
v_cmp_u_f32 s[sgprFp16AltNanCheck:sgprFp16AltNanCheck+1], v[vgprG2Lpipe1], v[vgprG2Lpipe1] // check NaN
v_add_u32 v[vgprFp16AltTmp], s[sgprFp16AltOffset], v[vgprG2Lpipe1] // 
v_cndmask_b32 v[vgprG2Lpipe1], v[vgprFp16AltTmp], v[vgprG2Lpipe1], s[sgprFp16AltNanCheck:sgprFp16AltNanCheck+1] // 
v_pack_b32_f16 v[vgprG2LB+1], v[vgprG2Lpipe0], v[vgprG2Lpipe1], op_sel:[1,1,0] // 
_ds_store_b64 v[vgprLocalWriteAddrB], v[vgprG2LB+0:vgprG2LB+0+1] offset:0 // lwoB_0_0_0_0 = (0*LSCB)*(MT1J+PAD) + (0*LSPB) = 0
s_waitcnt lgkmcnt(6)                               // lgkmcnt=0 vmcnt=-1wait for prior local read local write old=0, new=6 newLW=2 newLR=4
/* pack scheduling: packAIdx:2, packBIdx:0 */
v_or_b32 v[vgprValuA_X2_I0+0], v[vgprValuA_X2_I0+0], v84 // pack two half Vgpr to one Vgpr
v_or_b32 v[vgprValuA_X2_I0+1], v[vgprValuA_X2_I0+1], v85 // pack two half Vgpr to one Vgpr
	;; [unrolled: 1-line block ×4, first 2 shown]
v_mfma_f32_32x32x8bf16_1k a[0+0:15+0], v[vgprValuB_X2_I0+0+0+0:vgprValuB_X2_I0+0+0+0+1], v[vgprValuA_X2_I0+0+0+0:vgprValuA_X2_I0+0+0+0+1], a[0:15]
/*  mfmaIndex:11  */
_ds_load_u16 v[vgprValuA_X3_I0+2], v[vgprLocalReadAddrA] offset:6464 // L -> Reg lro=3200 swapByteOffset=0 ti=32 vIdx=1 rIdx=0 oIdx=0 buffer=3 iui=0
_ds_load_u16_d16_hi v96, v[vgprLocalReadAddrA] offset:6784 // L -> Reg lro=3200 swapByteOffset=0 ti=32 vIdx=1 rIdx=1 oIdx=0 buffer=3 iui=0
_ds_load_u16 v[vgprValuA_X3_I0+3], v[vgprLocalReadAddrA] offset:7104 // L -> Reg lro=3200 swapByteOffset=0 ti=32 vIdx=1 rIdx=2 oIdx=0 buffer=3 iui=0
_ds_load_u16_d16_hi v97, v[vgprLocalReadAddrA] offset:7424 // L -> Reg lro=3200 swapByteOffset=0 ti=32 vIdx=1 rIdx=3 oIdx=0 buffer=3 iui=0
/* sched write - iter 2 writesPerItem=1 */
s_waitcnt vmcnt(0)                                 // lgkmcnt=-1 vmcnt=0wait for global read before writing to local
v_cvt_f32_f16 v[vgprG2Lpipe0], v[vgprG2LB+2]       // 
v_cmp_u_f32 s[sgprFp16AltNanCheck:sgprFp16AltNanCheck+1], v[vgprG2Lpipe0], v[vgprG2Lpipe0] // check NaN
v_add_u32 v[vgprFp16AltTmp], s[sgprFp16AltOffset], v[vgprG2Lpipe0] // 
v_cndmask_b32 v[vgprG2Lpipe0], v[vgprFp16AltTmp], v[vgprG2Lpipe0], s[sgprFp16AltNanCheck:sgprFp16AltNanCheck+1] // 
v_cvt_f32_f16 v[vgprG2Lpipe1], v[vgprG2LB+2], src0_sel:WORD_1 // 
v_cmp_u_f32 s[sgprFp16AltNanCheck:sgprFp16AltNanCheck+1], v[vgprG2Lpipe1], v[vgprG2Lpipe1] // check NaN
v_add_u32 v[vgprFp16AltTmp], s[sgprFp16AltOffset], v[vgprG2Lpipe1] // 
v_cndmask_b32 v[vgprG2Lpipe1], v[vgprFp16AltTmp], v[vgprG2Lpipe1], s[sgprFp16AltNanCheck:sgprFp16AltNanCheck+1] // 
v_pack_b32_f16 v[vgprG2LB+2], v[vgprG2Lpipe0], v[vgprG2Lpipe1], op_sel:[1,1,0] // 
v_cvt_f32_f16 v[vgprG2Lpipe0], v[vgprG2LB+3]       // 
v_cmp_u_f32 s[sgprFp16AltNanCheck:sgprFp16AltNanCheck+1], v[vgprG2Lpipe0], v[vgprG2Lpipe0] // check NaN
v_add_u32 v[vgprFp16AltTmp], s[sgprFp16AltOffset], v[vgprG2Lpipe0] // 
v_cndmask_b32 v[vgprG2Lpipe0], v[vgprFp16AltTmp], v[vgprG2Lpipe0], s[sgprFp16AltNanCheck:sgprFp16AltNanCheck+1] // 
v_cvt_f32_f16 v[vgprG2Lpipe1], v[vgprG2LB+3], src0_sel:WORD_1 // 
v_cmp_u_f32 s[sgprFp16AltNanCheck:sgprFp16AltNanCheck+1], v[vgprG2Lpipe1], v[vgprG2Lpipe1] // check NaN
v_add_u32 v[vgprFp16AltTmp], s[sgprFp16AltOffset], v[vgprG2Lpipe1] // 
v_cndmask_b32 v[vgprG2Lpipe1], v[vgprFp16AltTmp], v[vgprG2Lpipe1], s[sgprFp16AltNanCheck:sgprFp16AltNanCheck+1] // 
v_pack_b32_f16 v[vgprG2LB+3], v[vgprG2Lpipe0], v[vgprG2Lpipe1], op_sel:[1,1,0] // 
_ds_store_b64 v[vgprLocalWriteAddrB], v[vgprG2LB+2:vgprG2LB+2+1] offset:576 // lwoB_0_0_1_0 = (0*LSCB)*(MT1J+PAD) + (1*LSPB) = 576
/* pack scheduling: packAIdx:4, packBIdx:0 */
v_or_b32 v[vgprValuA_X2_I0+4], v[vgprValuA_X2_I0+4], v88 // pack two half Vgpr to one Vgpr
v_or_b32 v[vgprValuA_X2_I0+5], v[vgprValuA_X2_I0+5], v89 // pack two half Vgpr to one Vgpr
	;; [unrolled: 1-line block ×4, first 2 shown]
v_mfma_f32_32x32x8bf16_1k a[16+0:31+0], v[vgprValuB_X2_I0+0+0+0:vgprValuB_X2_I0+0+0+0+1], v[vgprValuA_X2_I0+2+0+0:vgprValuA_X2_I0+2+0+0+1], a[16:31]
/*  mfmaIndex:12  */
_ds_load_u16 v[vgprValuA_X3_I0+4], v[vgprLocalReadAddrA] offset:6528 // L -> Reg lro=3200 swapByteOffset=0 ti=32 vIdx=2 rIdx=0 oIdx=0 buffer=3 iui=0
_ds_load_u16_d16_hi v98, v[vgprLocalReadAddrA] offset:6848 // L -> Reg lro=3200 swapByteOffset=0 ti=32 vIdx=2 rIdx=1 oIdx=0 buffer=3 iui=0
_ds_load_u16 v[vgprValuA_X3_I0+5], v[vgprLocalReadAddrA] offset:7168 // L -> Reg lro=3200 swapByteOffset=0 ti=32 vIdx=2 rIdx=2 oIdx=0 buffer=3 iui=0
_ds_load_u16_d16_hi v99, v[vgprLocalReadAddrA] offset:7488 // L -> Reg lro=3200 swapByteOffset=0 ti=32 vIdx=2 rIdx=3 oIdx=0 buffer=3 iui=0
/* sched write - iter 2 writesPerItem=1 */
s_waitcnt vmcnt(0)                                 // lgkmcnt=-1 vmcnt=0wait for global read before writing to local
v_cvt_f32_f16 v[vgprG2Lpipe0], v[vgprG2LB+4]       // 
v_cmp_u_f32 s[sgprFp16AltNanCheck:sgprFp16AltNanCheck+1], v[vgprG2Lpipe0], v[vgprG2Lpipe0] // check NaN
v_add_u32 v[vgprFp16AltTmp], s[sgprFp16AltOffset], v[vgprG2Lpipe0] // 
v_cndmask_b32 v[vgprG2Lpipe0], v[vgprFp16AltTmp], v[vgprG2Lpipe0], s[sgprFp16AltNanCheck:sgprFp16AltNanCheck+1] // 
v_cvt_f32_f16 v[vgprG2Lpipe1], v[vgprG2LB+4], src0_sel:WORD_1 // 
v_cmp_u_f32 s[sgprFp16AltNanCheck:sgprFp16AltNanCheck+1], v[vgprG2Lpipe1], v[vgprG2Lpipe1] // check NaN
v_add_u32 v[vgprFp16AltTmp], s[sgprFp16AltOffset], v[vgprG2Lpipe1] // 
v_cndmask_b32 v[vgprG2Lpipe1], v[vgprFp16AltTmp], v[vgprG2Lpipe1], s[sgprFp16AltNanCheck:sgprFp16AltNanCheck+1] // 
v_pack_b32_f16 v[vgprG2LB+4], v[vgprG2Lpipe0], v[vgprG2Lpipe1], op_sel:[1,1,0] // 
v_cvt_f32_f16 v[vgprG2Lpipe0], v[vgprG2LB+5]       // 
v_cmp_u_f32 s[sgprFp16AltNanCheck:sgprFp16AltNanCheck+1], v[vgprG2Lpipe0], v[vgprG2Lpipe0] // check NaN
v_add_u32 v[vgprFp16AltTmp], s[sgprFp16AltOffset], v[vgprG2Lpipe0] // 
v_cndmask_b32 v[vgprG2Lpipe0], v[vgprFp16AltTmp], v[vgprG2Lpipe0], s[sgprFp16AltNanCheck:sgprFp16AltNanCheck+1] // 
v_cvt_f32_f16 v[vgprG2Lpipe1], v[vgprG2LB+5], src0_sel:WORD_1 // 
v_cmp_u_f32 s[sgprFp16AltNanCheck:sgprFp16AltNanCheck+1], v[vgprG2Lpipe1], v[vgprG2Lpipe1] // check NaN
v_add_u32 v[vgprFp16AltTmp], s[sgprFp16AltOffset], v[vgprG2Lpipe1] // 
v_cndmask_b32 v[vgprG2Lpipe1], v[vgprFp16AltTmp], v[vgprG2Lpipe1], s[sgprFp16AltNanCheck:sgprFp16AltNanCheck+1] // 
v_pack_b32_f16 v[vgprG2LB+5], v[vgprG2Lpipe0], v[vgprG2Lpipe1], op_sel:[1,1,0] // 
_ds_store_b64 v[vgprLocalWriteAddrB], v[vgprG2LB+4:vgprG2LB+4+1] offset:1152 // lwoB_0_0_2_0 = (0*LSCB)*(MT1J+PAD) + (2*LSPB) = 1152
/* pack scheduling: packAIdx:6, packBIdx:0 */
v_or_b32 v[vgprValuA_X2_I0+8], v[vgprValuA_X2_I0+8], v92 // pack two half Vgpr to one Vgpr
v_or_b32 v[vgprValuA_X2_I0+9], v[vgprValuA_X2_I0+9], v93 // pack two half Vgpr to one Vgpr
v_mfma_f32_32x32x8bf16_1k a[32+0:47+0], v[vgprValuB_X2_I0+0+0+0:vgprValuB_X2_I0+0+0+0+1], v[vgprValuA_X2_I0+4+0+0:vgprValuA_X2_I0+4+0+0+1], a[32:47]
/*  mfmaIndex:13  */
_ds_load_u16 v[vgprValuA_X3_I0+6], v[vgprLocalReadAddrA] offset:6592 // L -> Reg lro=3200 swapByteOffset=0 ti=32 vIdx=3 rIdx=0 oIdx=0 buffer=3 iui=0
_ds_load_u16_d16_hi v100, v[vgprLocalReadAddrA] offset:6912 // L -> Reg lro=3200 swapByteOffset=0 ti=32 vIdx=3 rIdx=1 oIdx=0 buffer=3 iui=0
_ds_load_u16 v[vgprValuA_X3_I0+7], v[vgprLocalReadAddrA] offset:7232 // L -> Reg lro=3200 swapByteOffset=0 ti=32 vIdx=3 rIdx=2 oIdx=0 buffer=3 iui=0
_ds_load_u16_d16_hi v101, v[vgprLocalReadAddrA] offset:7552 // L -> Reg lro=3200 swapByteOffset=0 ti=32 vIdx=3 rIdx=3 oIdx=0 buffer=3 iui=0
/* sched write - iter 2 writesPerItem=1 */
s_waitcnt vmcnt(0)                                 // lgkmcnt=-1 vmcnt=0wait for global read before writing to local
v_cvt_f32_f16 v[vgprG2Lpipe0], v[vgprG2LB+6]       // 
v_cmp_u_f32 s[sgprFp16AltNanCheck:sgprFp16AltNanCheck+1], v[vgprG2Lpipe0], v[vgprG2Lpipe0] // check NaN
v_add_u32 v[vgprFp16AltTmp], s[sgprFp16AltOffset], v[vgprG2Lpipe0] // 
v_cndmask_b32 v[vgprG2Lpipe0], v[vgprFp16AltTmp], v[vgprG2Lpipe0], s[sgprFp16AltNanCheck:sgprFp16AltNanCheck+1] // 
v_cvt_f32_f16 v[vgprG2Lpipe1], v[vgprG2LB+6], src0_sel:WORD_1 // 
v_cmp_u_f32 s[sgprFp16AltNanCheck:sgprFp16AltNanCheck+1], v[vgprG2Lpipe1], v[vgprG2Lpipe1] // check NaN
v_add_u32 v[vgprFp16AltTmp], s[sgprFp16AltOffset], v[vgprG2Lpipe1] // 
v_cndmask_b32 v[vgprG2Lpipe1], v[vgprFp16AltTmp], v[vgprG2Lpipe1], s[sgprFp16AltNanCheck:sgprFp16AltNanCheck+1] // 
v_pack_b32_f16 v[vgprG2LB+6], v[vgprG2Lpipe0], v[vgprG2Lpipe1], op_sel:[1,1,0] // 
v_cvt_f32_f16 v[vgprG2Lpipe0], v[vgprG2LB+7]       // 
v_cmp_u_f32 s[sgprFp16AltNanCheck:sgprFp16AltNanCheck+1], v[vgprG2Lpipe0], v[vgprG2Lpipe0] // check NaN
v_add_u32 v[vgprFp16AltTmp], s[sgprFp16AltOffset], v[vgprG2Lpipe0] // 
v_cndmask_b32 v[vgprG2Lpipe0], v[vgprFp16AltTmp], v[vgprG2Lpipe0], s[sgprFp16AltNanCheck:sgprFp16AltNanCheck+1] // 
v_cvt_f32_f16 v[vgprG2Lpipe1], v[vgprG2LB+7], src0_sel:WORD_1 // 
v_cmp_u_f32 s[sgprFp16AltNanCheck:sgprFp16AltNanCheck+1], v[vgprG2Lpipe1], v[vgprG2Lpipe1] // check NaN
v_add_u32 v[vgprFp16AltTmp], s[sgprFp16AltOffset], v[vgprG2Lpipe1] // 
v_cndmask_b32 v[vgprG2Lpipe1], v[vgprFp16AltTmp], v[vgprG2Lpipe1], s[sgprFp16AltNanCheck:sgprFp16AltNanCheck+1] // 
v_pack_b32_f16 v[vgprG2LB+7], v[vgprG2Lpipe0], v[vgprG2Lpipe1], op_sel:[1,1,0] // 
_ds_store_b64 v[vgprLocalWriteAddrB], v[vgprG2LB+6:vgprG2LB+6+1] offset:1728 // lwoB_0_0_3_0 = (0*LSCB)*(MT1J+PAD) + (3*LSPB) = 1728
v_mfma_f32_32x32x8bf16_1k a[48+0:63+0], v[vgprValuB_X2_I0+0+0+0:vgprValuB_X2_I0+0+0+0+1], v[vgprValuA_X2_I0+6+0+0:vgprValuA_X2_I0+6+0+0+1], a[48:63]
/*  mfmaIndex:14  */
_ds_load_u16 v[vgprValuA_X3_I0+8], v[vgprLocalReadAddrA] offset:6656 // L -> Reg lro=3200 swapByteOffset=0 ti=32 vIdx=4 rIdx=0 oIdx=0 buffer=3 iui=0
_ds_load_u16_d16_hi v102, v[vgprLocalReadAddrA] offset:6976 // L -> Reg lro=3200 swapByteOffset=0 ti=32 vIdx=4 rIdx=1 oIdx=0 buffer=3 iui=0
_ds_load_u16 v[vgprValuA_X3_I0+9], v[vgprLocalReadAddrA] offset:7296 // L -> Reg lro=3200 swapByteOffset=0 ti=32 vIdx=4 rIdx=2 oIdx=0 buffer=3 iui=0
_ds_load_u16_d16_hi v103, v[vgprLocalReadAddrA] offset:7616 // L -> Reg lro=3200 swapByteOffset=0 ti=32 vIdx=4 rIdx=3 oIdx=0 buffer=3 iui=0
/* localReadsVacancy: latencyLeft 5 */

/* local write swap offsets a */
v_xor_b32 v[vgprLocalWriteAddrA+0], 0x8000, v[vgprLocalWriteAddrA+0] // swap Red Blk

/* local write swap offsets b */
v_xor_b32 v[vgprLocalWriteAddrB+0], 0x8000, v[vgprLocalWriteAddrB+0] // swap Red Blk

/* local read swap offsets a */
v_xor_b32 v[vgprLocalReadAddrA], 0x8000, v[vgprLocalReadAddrA] // swap Red Blk

/* local read swap offsets b */
v_xor_b32 v[vgprLocalReadAddrB], 0x8000, v[vgprLocalReadAddrB] // swap Red Blk

/* local read init pointers a */

/* localReadInitPointers */

/* local read init pointers b */

/* localReadInitPointers */
v_mfma_f32_32x32x8bf16_1k a[64+0:79+0], v[vgprValuB_X2_I0+0+0+0:vgprValuB_X2_I0+0+0+0+1], v[vgprValuA_X2_I0+8+0+0:vgprValuA_X2_I0+8+0+0+1], a[64:79]
/* numPrefetchIter=0 */
/* dataAtIterA=1 numReadsIterA=3 skipReadsIterA=1 readsPerIterA=20 */
/* dataAtIterB=0 numReadsIterB=1 skipReadsIterB=0 readsPerIterB=1 */


/* iter 3 */

/*  grEndMfmaIndex:3, lwStartMfmaIndex:5, lwEndMfmaIndex:14  */
/*  numMfmaForLR:4, barrierMfmaIndex:15, LocalWritePerMfma:0.900 */
/*  mfmaIndex:15  */
s_waitcnt lgkmcnt(0)                               // lgkmcnt=0 vmcnt=-13wait for local write
// Skip force waitcnt0
s_barrier //
s_waitcnt lgkmcnt(0)                               // lgkmcnt=0 vmcnt=-1wait for prior local read local write old=0, new=0 newLW=0 newLR=0
/* pack scheduling: packAIdx:2, packBIdx:0 */
v_or_b32 v[vgprValuA_X3_I0+0], v[vgprValuA_X3_I0+0], v94 // pack two half Vgpr to one Vgpr
v_or_b32 v[vgprValuA_X3_I0+1], v[vgprValuA_X3_I0+1], v95 // pack two half Vgpr to one Vgpr
	;; [unrolled: 1-line block ×4, first 2 shown]
v_mfma_f32_32x32x8bf16_1k a[0+0:15+0], v[vgprValuB_X2_I0+0+2+0:vgprValuB_X2_I0+0+2+0+1], v[vgprValuA_X3_I0+0+0+0:vgprValuA_X3_I0+0+0+0+1], a[0:15]
/*  mfmaIndex:16  */
_ds_load_u16 v[vgprValuA_X0_I0+0], v[vgprLocalReadAddrA] offset:0 // L -> Reg lro=0 swapByteOffset=0 ti=32 vIdx=0 rIdx=0 oIdx=0 buffer=0 iui=0
_ds_load_u16_d16_hi v84, v[vgprLocalReadAddrA] offset:320 // L -> Reg lro=0 swapByteOffset=0 ti=32 vIdx=0 rIdx=1 oIdx=0 buffer=0 iui=0
_ds_load_u16 v[vgprValuA_X0_I0+1], v[vgprLocalReadAddrA] offset:640 // L -> Reg lro=0 swapByteOffset=0 ti=32 vIdx=0 rIdx=2 oIdx=0 buffer=0 iui=0
_ds_load_u16_d16_hi v85, v[vgprLocalReadAddrA] offset:960 // L -> Reg lro=0 swapByteOffset=0 ti=32 vIdx=0 rIdx=3 oIdx=0 buffer=0 iui=0
_ds_load_b128 v[vgprValuB_X0_I0+0:vgprValuB_X0_I0+0+3], v[vgprLocalReadAddrB] offset:0 // L -> Reg lro=0 swapByteOffset=0 ti=128 vIdx=0 rIdx=0 oIdx=0 buffer=0 iui=0
_ds_load_u16 v[vgprValuA_X0_I0+2], v[vgprLocalReadAddrA] offset:64 // L -> Reg lro=0 swapByteOffset=0 ti=32 vIdx=1 rIdx=0 oIdx=0 buffer=0 iui=0
/* pack scheduling: packAIdx:4, packBIdx:0 */
v_or_b32 v[vgprValuA_X3_I0+4], v[vgprValuA_X3_I0+4], v98 // pack two half Vgpr to one Vgpr
v_or_b32 v[vgprValuA_X3_I0+5], v[vgprValuA_X3_I0+5], v99 // pack two half Vgpr to one Vgpr
	;; [unrolled: 1-line block ×4, first 2 shown]
v_mfma_f32_32x32x8bf16_1k a[16+0:31+0], v[vgprValuB_X2_I0+0+2+0:vgprValuB_X2_I0+0+2+0+1], v[vgprValuA_X3_I0+2+0+0:vgprValuA_X3_I0+2+0+0+1], a[16:31]
/*  mfmaIndex:17  */
_ds_load_u16_d16_hi v86, v[vgprLocalReadAddrA] offset:384 // L -> Reg lro=0 swapByteOffset=0 ti=32 vIdx=1 rIdx=1 oIdx=0 buffer=0 iui=0
_ds_load_u16 v[vgprValuA_X0_I0+3], v[vgprLocalReadAddrA] offset:704 // L -> Reg lro=0 swapByteOffset=0 ti=32 vIdx=1 rIdx=2 oIdx=0 buffer=0 iui=0
_ds_load_u16_d16_hi v87, v[vgprLocalReadAddrA] offset:1024 // L -> Reg lro=0 swapByteOffset=0 ti=32 vIdx=1 rIdx=3 oIdx=0 buffer=0 iui=0
_ds_load_u16 v[vgprValuA_X0_I0+4], v[vgprLocalReadAddrA] offset:128 // L -> Reg lro=0 swapByteOffset=0 ti=32 vIdx=2 rIdx=0 oIdx=0 buffer=0 iui=0
	;; [unrolled: 2-line block ×3, first 2 shown]
/* pack scheduling: packAIdx:6, packBIdx:0 */
v_or_b32 v[vgprValuA_X3_I0+8], v[vgprValuA_X3_I0+8], v102 // pack two half Vgpr to one Vgpr
v_or_b32 v[vgprValuA_X3_I0+9], v[vgprValuA_X3_I0+9], v103 // pack two half Vgpr to one Vgpr
v_mfma_f32_32x32x8bf16_1k a[32+0:47+0], v[vgprValuB_X2_I0+0+2+0:vgprValuB_X2_I0+0+2+0+1], v[vgprValuA_X3_I0+4+0+0:vgprValuA_X3_I0+4+0+0+1], a[32:47]
/*  mfmaIndex:18  */
_ds_load_u16_d16_hi v89, v[vgprLocalReadAddrA] offset:1088 // L -> Reg lro=0 swapByteOffset=0 ti=32 vIdx=2 rIdx=3 oIdx=0 buffer=0 iui=0
_ds_load_u16 v[vgprValuA_X0_I0+6], v[vgprLocalReadAddrA] offset:192 // L -> Reg lro=0 swapByteOffset=0 ti=32 vIdx=3 rIdx=0 oIdx=0 buffer=0 iui=0
_ds_load_u16_d16_hi v90, v[vgprLocalReadAddrA] offset:512 // L -> Reg lro=0 swapByteOffset=0 ti=32 vIdx=3 rIdx=1 oIdx=0 buffer=0 iui=0
_ds_load_u16 v[vgprValuA_X0_I0+7], v[vgprLocalReadAddrA] offset:832 // L -> Reg lro=0 swapByteOffset=0 ti=32 vIdx=3 rIdx=2 oIdx=0 buffer=0 iui=0
	;; [unrolled: 2-line block ×3, first 2 shown]
v_mfma_f32_32x32x8bf16_1k a[48+0:63+0], v[vgprValuB_X2_I0+0+2+0:vgprValuB_X2_I0+0+2+0+1], v[vgprValuA_X3_I0+6+0+0:vgprValuA_X3_I0+6+0+0+1], a[48:63]
/*  mfmaIndex:19  */
_ds_load_u16_d16_hi v92, v[vgprLocalReadAddrA] offset:576 // L -> Reg lro=0 swapByteOffset=0 ti=32 vIdx=4 rIdx=1 oIdx=0 buffer=0 iui=0
_ds_load_u16 v[vgprValuA_X0_I0+9], v[vgprLocalReadAddrA] offset:896 // L -> Reg lro=0 swapByteOffset=0 ti=32 vIdx=4 rIdx=2 oIdx=0 buffer=0 iui=0
_ds_load_u16_d16_hi v93, v[vgprLocalReadAddrA] offset:1216 // L -> Reg lro=0 swapByteOffset=0 ti=32 vIdx=4 rIdx=3 oIdx=0 buffer=0 iui=0
v_mfma_f32_32x32x8bf16_1k a[64+0:79+0], v[vgprValuB_X2_I0+0+2+0:vgprValuB_X2_I0+0+2+0+1], v[vgprValuA_X3_I0+8+0+0:vgprValuA_X3_I0+8+0+0+1], a[64:79]
/* numPrefetchIter=1 */
/* dataAtIterA=2 numReadsIterA=3 skipReadsIterA=1 readsPerIterA=20 */
/* dataAtIterB=0 numReadsIterB=1 skipReadsIterB=1 readsPerIterB=1 */

label_0014:


/******************************************/
/* Ord. NoLoadLoop - Begin                                      */
/******************************************/


	;; [unrolled: 1-line block ×4, first 2 shown]
/* iter 0 (last unrolled loop) */

/*  grEndMfmaIndex:0, lwStartMfmaIndex:14, lwEndMfmaIndex:14  */
/*  numMfmaForLR:4, barrierMfmaIndex:15, LocalWritePerMfma:0.900 */
/*  mfmaIndex:0  */
s_waitcnt lgkmcnt(0)                               // lgkmcnt=0 vmcnt=-1wait for prior local read local write old=0, new=0 newLW=0 newLR=0
/* pack scheduling: packAIdx:2, packBIdx:0 */
v_or_b32 v[vgprValuA_X0_I0+0], v[vgprValuA_X0_I0+0], v84 // pack two half Vgpr to one Vgpr
v_or_b32 v[vgprValuA_X0_I0+1], v[vgprValuA_X0_I0+1], v85 // pack two half Vgpr to one Vgpr
	;; [unrolled: 1-line block ×4, first 2 shown]
v_mfma_f32_32x32x8bf16_1k a[0+0:15+0], v[vgprValuB_X0_I0+0+0+0:vgprValuB_X0_I0+0+0+0+1], v[vgprValuA_X0_I0+0+0+0:vgprValuA_X0_I0+0+0+0+1], a[0:15]
/*  mfmaIndex:1  */
_ds_load_u16 v[vgprValuA_X1_I0+0], v[vgprLocalReadAddrA] offset:1280 // L -> Reg lro=640 swapByteOffset=0 ti=32 vIdx=0 rIdx=0 oIdx=0 buffer=1 iui=0
_ds_load_u16_d16_hi v94, v[vgprLocalReadAddrA] offset:1600 // L -> Reg lro=640 swapByteOffset=0 ti=32 vIdx=0 rIdx=1 oIdx=0 buffer=1 iui=0
_ds_load_u16 v[vgprValuA_X1_I0+1], v[vgprLocalReadAddrA] offset:1920 // L -> Reg lro=640 swapByteOffset=0 ti=32 vIdx=0 rIdx=2 oIdx=0 buffer=1 iui=0
_ds_load_u16_d16_hi v95, v[vgprLocalReadAddrA] offset:2240 // L -> Reg lro=640 swapByteOffset=0 ti=32 vIdx=0 rIdx=3 oIdx=0 buffer=1 iui=0
_ds_load_b128 v[vgprValuB_X2_I0+0:vgprValuB_X2_I0+0+3], v[vgprLocalReadAddrB] offset:32 // L -> Reg lro=16 swapByteOffset=0 ti=128 vIdx=0 rIdx=0 oIdx=0 buffer=2 iui=0
_ds_load_u16 v[vgprValuA_X1_I0+2], v[vgprLocalReadAddrA] offset:1344 // L -> Reg lro=640 swapByteOffset=0 ti=32 vIdx=1 rIdx=0 oIdx=0 buffer=1 iui=0
/* pack scheduling: packAIdx:4, packBIdx:0 */
v_or_b32 v[vgprValuA_X0_I0+4], v[vgprValuA_X0_I0+4], v88 // pack two half Vgpr to one Vgpr
v_or_b32 v[vgprValuA_X0_I0+5], v[vgprValuA_X0_I0+5], v89 // pack two half Vgpr to one Vgpr
	;; [unrolled: 1-line block ×4, first 2 shown]
v_mfma_f32_32x32x8bf16_1k a[16+0:31+0], v[vgprValuB_X0_I0+0+0+0:vgprValuB_X0_I0+0+0+0+1], v[vgprValuA_X0_I0+2+0+0:vgprValuA_X0_I0+2+0+0+1], a[16:31]
/*  mfmaIndex:2  */
_ds_load_u16_d16_hi v96, v[vgprLocalReadAddrA] offset:1664 // L -> Reg lro=640 swapByteOffset=0 ti=32 vIdx=1 rIdx=1 oIdx=0 buffer=1 iui=0
_ds_load_u16 v[vgprValuA_X1_I0+3], v[vgprLocalReadAddrA] offset:1984 // L -> Reg lro=640 swapByteOffset=0 ti=32 vIdx=1 rIdx=2 oIdx=0 buffer=1 iui=0
_ds_load_u16_d16_hi v97, v[vgprLocalReadAddrA] offset:2304 // L -> Reg lro=640 swapByteOffset=0 ti=32 vIdx=1 rIdx=3 oIdx=0 buffer=1 iui=0
_ds_load_u16 v[vgprValuA_X1_I0+4], v[vgprLocalReadAddrA] offset:1408 // L -> Reg lro=640 swapByteOffset=0 ti=32 vIdx=2 rIdx=0 oIdx=0 buffer=1 iui=0
	;; [unrolled: 2-line block ×3, first 2 shown]
/* pack scheduling: packAIdx:6, packBIdx:0 */
v_or_b32 v[vgprValuA_X0_I0+8], v[vgprValuA_X0_I0+8], v92 // pack two half Vgpr to one Vgpr
v_or_b32 v[vgprValuA_X0_I0+9], v[vgprValuA_X0_I0+9], v93 // pack two half Vgpr to one Vgpr
v_mfma_f32_32x32x8bf16_1k a[32+0:47+0], v[vgprValuB_X0_I0+0+0+0:vgprValuB_X0_I0+0+0+0+1], v[vgprValuA_X0_I0+4+0+0:vgprValuA_X0_I0+4+0+0+1], a[32:47]
/*  mfmaIndex:3  */
_ds_load_u16_d16_hi v99, v[vgprLocalReadAddrA] offset:2368 // L -> Reg lro=640 swapByteOffset=0 ti=32 vIdx=2 rIdx=3 oIdx=0 buffer=1 iui=0
_ds_load_u16 v[vgprValuA_X1_I0+6], v[vgprLocalReadAddrA] offset:1472 // L -> Reg lro=640 swapByteOffset=0 ti=32 vIdx=3 rIdx=0 oIdx=0 buffer=1 iui=0
_ds_load_u16_d16_hi v100, v[vgprLocalReadAddrA] offset:1792 // L -> Reg lro=640 swapByteOffset=0 ti=32 vIdx=3 rIdx=1 oIdx=0 buffer=1 iui=0
_ds_load_u16 v[vgprValuA_X1_I0+7], v[vgprLocalReadAddrA] offset:2112 // L -> Reg lro=640 swapByteOffset=0 ti=32 vIdx=3 rIdx=2 oIdx=0 buffer=1 iui=0
_ds_load_u16_d16_hi v101, v[vgprLocalReadAddrA] offset:2432 // L -> Reg lro=640 swapByteOffset=0 ti=32 vIdx=3 rIdx=3 oIdx=0 buffer=1 iui=0
_ds_load_u16 v[vgprValuA_X1_I0+8], v[vgprLocalReadAddrA] offset:1536 // L -> Reg lro=640 swapByteOffset=0 ti=32 vIdx=4 rIdx=0 oIdx=0 buffer=1 iui=0
v_mfma_f32_32x32x8bf16_1k a[48+0:63+0], v[vgprValuB_X0_I0+0+0+0:vgprValuB_X0_I0+0+0+0+1], v[vgprValuA_X0_I0+6+0+0:vgprValuA_X0_I0+6+0+0+1], a[48:63]
/*  mfmaIndex:4  */
_ds_load_u16_d16_hi v102, v[vgprLocalReadAddrA] offset:1856 // L -> Reg lro=640 swapByteOffset=0 ti=32 vIdx=4 rIdx=1 oIdx=0 buffer=1 iui=0
_ds_load_u16 v[vgprValuA_X1_I0+9], v[vgprLocalReadAddrA] offset:2176 // L -> Reg lro=640 swapByteOffset=0 ti=32 vIdx=4 rIdx=2 oIdx=0 buffer=1 iui=0
_ds_load_u16_d16_hi v103, v[vgprLocalReadAddrA] offset:2496 // L -> Reg lro=640 swapByteOffset=0 ti=32 vIdx=4 rIdx=3 oIdx=0 buffer=1 iui=0
/* localReadsVacancy: latencyLeft 7 */
_ds_load_u16 v[vgprValuA_X2_I0+0], v[vgprLocalReadAddrA] offset:5120 // L -> Reg lro=2560 swapByteOffset=0 ti=32 vIdx=0 rIdx=0 oIdx=0 buffer=2 iui=0
_ds_load_u16 v[vgprValuA_X2_I0+1], v[vgprLocalReadAddrA] offset:5760 // L -> Reg lro=2560 swapByteOffset=0 ti=32 vIdx=0 rIdx=2 oIdx=0 buffer=2 iui=0
	;; [unrolled: 1-line block ×3, first 2 shown]
v_mfma_f32_32x32x8bf16_1k a[64+0:79+0], v[vgprValuB_X0_I0+0+0+0:vgprValuB_X0_I0+0+0+0+1], v[vgprValuA_X0_I0+8+0+0:vgprValuA_X0_I0+8+0+0+1], a[64:79]
/* numPrefetchIter=0 */
/* dataAtIterA=-1 numReadsIterA=1 skipReadsIterA=1 readsPerIterA=20 */
/* dataAtIterB=-1 numReadsIterB=1 skipReadsIterB=1 readsPerIterB=1 */


/* iter 1 (last unrolled loop) */

/*  grEndMfmaIndex:0, lwStartMfmaIndex:14, lwEndMfmaIndex:14  */
/*  numMfmaForLR:4, barrierMfmaIndex:15, LocalWritePerMfma:0.900 */
/*  mfmaIndex:5  */
_ds_load_u16_d16_hi v84, v[vgprLocalReadAddrA] offset:5440 // L -> Reg lro=2560 swapByteOffset=0 ti=32 vIdx=0 rIdx=1 oIdx=0 buffer=2 iui=0
_ds_load_u16_d16_hi v85, v[vgprLocalReadAddrA] offset:6080 // L -> Reg lro=2560 swapByteOffset=0 ti=32 vIdx=0 rIdx=3 oIdx=0 buffer=2 iui=0
	;; [unrolled: 1-line block ×3, first 2 shown]
_ds_load_u16 v[vgprValuA_X2_I0+3], v[vgprLocalReadAddrA] offset:5824 // L -> Reg lro=2560 swapByteOffset=0 ti=32 vIdx=1 rIdx=2 oIdx=0 buffer=2 iui=0
_ds_load_u16_d16_hi v87, v[vgprLocalReadAddrA] offset:6144 // L -> Reg lro=2560 swapByteOffset=0 ti=32 vIdx=1 rIdx=3 oIdx=0 buffer=2 iui=0
_ds_load_u16 v[vgprValuA_X2_I0+4], v[vgprLocalReadAddrA] offset:5248 // L -> Reg lro=2560 swapByteOffset=0 ti=32 vIdx=2 rIdx=0 oIdx=0 buffer=2 iui=0
s_waitcnt lgkmcnt(9)                               // lgkmcnt=0 vmcnt=-1wait for prior local read local write old=3, new=9 newLW=0 newLR=6
/* pack scheduling: packAIdx:2, packBIdx:0 */
v_or_b32 v[vgprValuA_X1_I0+0], v[vgprValuA_X1_I0+0], v94 // pack two half Vgpr to one Vgpr
v_or_b32 v[vgprValuA_X1_I0+1], v[vgprValuA_X1_I0+1], v95 // pack two half Vgpr to one Vgpr
	;; [unrolled: 1-line block ×4, first 2 shown]
v_mfma_f32_32x32x8bf16_1k a[0+0:15+0], v[vgprValuB_X0_I0+0+2+0:vgprValuB_X0_I0+0+2+0+1], v[vgprValuA_X1_I0+0+0+0:vgprValuA_X1_I0+0+0+0+1], a[0:15]
/*  mfmaIndex:6  */
_ds_load_u16_d16_hi v88, v[vgprLocalReadAddrA] offset:5568 // L -> Reg lro=2560 swapByteOffset=0 ti=32 vIdx=2 rIdx=1 oIdx=0 buffer=2 iui=0
_ds_load_u16 v[vgprValuA_X2_I0+5], v[vgprLocalReadAddrA] offset:5888 // L -> Reg lro=2560 swapByteOffset=0 ti=32 vIdx=2 rIdx=2 oIdx=0 buffer=2 iui=0
_ds_load_u16_d16_hi v89, v[vgprLocalReadAddrA] offset:6208 // L -> Reg lro=2560 swapByteOffset=0 ti=32 vIdx=2 rIdx=3 oIdx=0 buffer=2 iui=0
_ds_load_u16 v[vgprValuA_X2_I0+6], v[vgprLocalReadAddrA] offset:5312 // L -> Reg lro=2560 swapByteOffset=0 ti=32 vIdx=3 rIdx=0 oIdx=0 buffer=2 iui=0
	;; [unrolled: 2-line block ×3, first 2 shown]
/* pack scheduling: packAIdx:4, packBIdx:0 */
v_or_b32 v[vgprValuA_X1_I0+4], v[vgprValuA_X1_I0+4], v98 // pack two half Vgpr to one Vgpr
v_or_b32 v[vgprValuA_X1_I0+5], v[vgprValuA_X1_I0+5], v99 // pack two half Vgpr to one Vgpr
	;; [unrolled: 1-line block ×4, first 2 shown]
v_mfma_f32_32x32x8bf16_1k a[16+0:31+0], v[vgprValuB_X0_I0+0+2+0:vgprValuB_X0_I0+0+2+0+1], v[vgprValuA_X1_I0+2+0+0:vgprValuA_X1_I0+2+0+0+1], a[16:31]
/*  mfmaIndex:7  */
_ds_load_u16_d16_hi v91, v[vgprLocalReadAddrA] offset:6272 // L -> Reg lro=2560 swapByteOffset=0 ti=32 vIdx=3 rIdx=3 oIdx=0 buffer=2 iui=0
_ds_load_u16 v[vgprValuA_X2_I0+8], v[vgprLocalReadAddrA] offset:5376 // L -> Reg lro=2560 swapByteOffset=0 ti=32 vIdx=4 rIdx=0 oIdx=0 buffer=2 iui=0
_ds_load_u16_d16_hi v92, v[vgprLocalReadAddrA] offset:5696 // L -> Reg lro=2560 swapByteOffset=0 ti=32 vIdx=4 rIdx=1 oIdx=0 buffer=2 iui=0
_ds_load_u16 v[vgprValuA_X2_I0+9], v[vgprLocalReadAddrA] offset:6016 // L -> Reg lro=2560 swapByteOffset=0 ti=32 vIdx=4 rIdx=2 oIdx=0 buffer=2 iui=0
_ds_load_u16_d16_hi v93, v[vgprLocalReadAddrA] offset:6336 // L -> Reg lro=2560 swapByteOffset=0 ti=32 vIdx=4 rIdx=3 oIdx=0 buffer=2 iui=0
/* localReadsVacancy: latencyLeft 3 */
_ds_load_u16 v[vgprValuA_X3_I0+0], v[vgprLocalReadAddrA] offset:6400 // L -> Reg lro=3200 swapByteOffset=0 ti=32 vIdx=0 rIdx=0 oIdx=0 buffer=3 iui=0
/* pack scheduling: packAIdx:6, packBIdx:0 */
v_or_b32 v[vgprValuA_X1_I0+8], v[vgprValuA_X1_I0+8], v102 // pack two half Vgpr to one Vgpr
v_or_b32 v[vgprValuA_X1_I0+9], v[vgprValuA_X1_I0+9], v103 // pack two half Vgpr to one Vgpr
v_mfma_f32_32x32x8bf16_1k a[32+0:47+0], v[vgprValuB_X0_I0+0+2+0:vgprValuB_X0_I0+0+2+0+1], v[vgprValuA_X1_I0+4+0+0:vgprValuA_X1_I0+4+0+0+1], a[32:47]
/*  mfmaIndex:8  */
/* localReadsVacancy: latencyLeft 13 */
_ds_load_u16 v[vgprValuA_X3_I0+1], v[vgprLocalReadAddrA] offset:7040 // L -> Reg lro=3200 swapByteOffset=0 ti=32 vIdx=0 rIdx=2 oIdx=0 buffer=3 iui=0
_ds_load_u16 v[vgprValuA_X3_I0+2], v[vgprLocalReadAddrA] offset:6464 // L -> Reg lro=3200 swapByteOffset=0 ti=32 vIdx=1 rIdx=0 oIdx=0 buffer=3 iui=0
	;; [unrolled: 1-line block ×6, first 2 shown]
v_mfma_f32_32x32x8bf16_1k a[48+0:63+0], v[vgprValuB_X0_I0+0+2+0:vgprValuB_X0_I0+0+2+0+1], v[vgprValuA_X1_I0+6+0+0:vgprValuA_X1_I0+6+0+0+1], a[48:63]
/*  mfmaIndex:9  */
/* localReadsVacancy: latencyLeft 13 */
_ds_load_u16 v[vgprValuA_X3_I0+7], v[vgprLocalReadAddrA] offset:7232 // L -> Reg lro=3200 swapByteOffset=0 ti=32 vIdx=3 rIdx=2 oIdx=0 buffer=3 iui=0
_ds_load_u16 v[vgprValuA_X3_I0+8], v[vgprLocalReadAddrA] offset:6656 // L -> Reg lro=3200 swapByteOffset=0 ti=32 vIdx=4 rIdx=0 oIdx=0 buffer=3 iui=0
	;; [unrolled: 1-line block ×3, first 2 shown]
v_mfma_f32_32x32x8bf16_1k a[64+0:79+0], v[vgprValuB_X0_I0+0+2+0:vgprValuB_X0_I0+0+2+0+1], v[vgprValuA_X1_I0+8+0+0:vgprValuA_X1_I0+8+0+0+1], a[64:79]
/* numPrefetchIter=0 */
/* dataAtIterA=0 numReadsIterA=2 skipReadsIterA=1 readsPerIterA=20 */
/* dataAtIterB=-1 numReadsIterB=1 skipReadsIterB=0 readsPerIterB=1 */


/* iter 2 (last unrolled loop) */

/*  grEndMfmaIndex:0, lwStartMfmaIndex:14, lwEndMfmaIndex:14  */
/*  numMfmaForLR:4, barrierMfmaIndex:15, LocalWritePerMfma:0.900 */
/*  mfmaIndex:10  */
_ds_load_u16_d16_hi v94, v[vgprLocalReadAddrA] offset:6720 // L -> Reg lro=3200 swapByteOffset=0 ti=32 vIdx=0 rIdx=1 oIdx=0 buffer=3 iui=0
_ds_load_u16_d16_hi v95, v[vgprLocalReadAddrA] offset:7360 // L -> Reg lro=3200 swapByteOffset=0 ti=32 vIdx=0 rIdx=3 oIdx=0 buffer=3 iui=0
	;; [unrolled: 1-line block ×6, first 2 shown]
s_waitcnt lgkmcnt(15)                              // lgkmcnt=0 vmcnt=-1wait for prior local read local write old=10, new=16 newLW=0 newLR=6
/* pack scheduling: packAIdx:2, packBIdx:0 */
v_or_b32 v[vgprValuA_X2_I0+0], v[vgprValuA_X2_I0+0], v84 // pack two half Vgpr to one Vgpr
v_or_b32 v[vgprValuA_X2_I0+1], v[vgprValuA_X2_I0+1], v85 // pack two half Vgpr to one Vgpr
	;; [unrolled: 1-line block ×4, first 2 shown]
v_mfma_f32_32x32x8bf16_1k a[0+0:15+0], v[vgprValuB_X2_I0+0+0+0:vgprValuB_X2_I0+0+0+0+1], v[vgprValuA_X2_I0+0+0+0:vgprValuA_X2_I0+0+0+0+1], a[0:15]
/*  mfmaIndex:11  */
_ds_load_u16_d16_hi v100, v[vgprLocalReadAddrA] offset:6912 // L -> Reg lro=3200 swapByteOffset=0 ti=32 vIdx=3 rIdx=1 oIdx=0 buffer=3 iui=0
_ds_load_u16_d16_hi v101, v[vgprLocalReadAddrA] offset:7552 // L -> Reg lro=3200 swapByteOffset=0 ti=32 vIdx=3 rIdx=3 oIdx=0 buffer=3 iui=0
	;; [unrolled: 1-line block ×4, first 2 shown]
/* localReadsVacancy: latencyLeft 5 */
/* pack scheduling: packAIdx:4, packBIdx:0 */
v_or_b32 v[vgprValuA_X2_I0+4], v[vgprValuA_X2_I0+4], v88 // pack two half Vgpr to one Vgpr
v_or_b32 v[vgprValuA_X2_I0+5], v[vgprValuA_X2_I0+5], v89 // pack two half Vgpr to one Vgpr
	;; [unrolled: 1-line block ×4, first 2 shown]
v_mfma_f32_32x32x8bf16_1k a[16+0:31+0], v[vgprValuB_X2_I0+0+0+0:vgprValuB_X2_I0+0+0+0+1], v[vgprValuA_X2_I0+2+0+0:vgprValuA_X2_I0+2+0+0+1], a[16:31]
/*  mfmaIndex:12  */
/* localReadsVacancy: latencyLeft 13 */
/* pack scheduling: packAIdx:6, packBIdx:0 */
v_or_b32 v[vgprValuA_X2_I0+8], v[vgprValuA_X2_I0+8], v92 // pack two half Vgpr to one Vgpr
v_or_b32 v[vgprValuA_X2_I0+9], v[vgprValuA_X2_I0+9], v93 // pack two half Vgpr to one Vgpr
v_mfma_f32_32x32x8bf16_1k a[32+0:47+0], v[vgprValuB_X2_I0+0+0+0:vgprValuB_X2_I0+0+0+0+1], v[vgprValuA_X2_I0+4+0+0:vgprValuA_X2_I0+4+0+0+1], a[32:47]
/*  mfmaIndex:13  */
/* localReadsVacancy: latencyLeft 13 */
v_mfma_f32_32x32x8bf16_1k a[48+0:63+0], v[vgprValuB_X2_I0+0+0+0:vgprValuB_X2_I0+0+0+0+1], v[vgprValuA_X2_I0+6+0+0:vgprValuA_X2_I0+6+0+0+1], a[48:63]
/*  mfmaIndex:14  */
/* localReadsVacancy: latencyLeft 13 */
v_mfma_f32_32x32x8bf16_1k a[64+0:79+0], v[vgprValuB_X2_I0+0+0+0:vgprValuB_X2_I0+0+0+0+1], v[vgprValuA_X2_I0+8+0+0:vgprValuA_X2_I0+8+0+0+1], a[64:79]
/* numPrefetchIter=0 */
/* dataAtIterA=1 numReadsIterA=3 skipReadsIterA=1 readsPerIterA=20 */
/* dataAtIterB=0 numReadsIterB=1 skipReadsIterB=0 readsPerIterB=1 */


/* iter 3 (last unrolled loop) */

/*  grEndMfmaIndex:0, lwStartMfmaIndex:14, lwEndMfmaIndex:14  */
/*  numMfmaForLR:4, barrierMfmaIndex:15, LocalWritePerMfma:0.900 */
/*  mfmaIndex:15  */
s_waitcnt lgkmcnt(0)                               // lgkmcnt=0 vmcnt=-1wait for prior local read local write old=0, new=0 newLW=0 newLR=0
/* pack scheduling: packAIdx:2, packBIdx:0 */
v_or_b32 v[vgprValuA_X3_I0+0], v[vgprValuA_X3_I0+0], v94 // pack two half Vgpr to one Vgpr
v_or_b32 v[vgprValuA_X3_I0+1], v[vgprValuA_X3_I0+1], v95 // pack two half Vgpr to one Vgpr
	;; [unrolled: 1-line block ×4, first 2 shown]
v_mfma_f32_32x32x8bf16_1k a[0+0:15+0], v[vgprValuB_X2_I0+0+2+0:vgprValuB_X2_I0+0+2+0+1], v[vgprValuA_X3_I0+0+0+0:vgprValuA_X3_I0+0+0+0+1], a[0:15]
/*  mfmaIndex:16  */
/* pack scheduling: packAIdx:4, packBIdx:0 */
v_or_b32 v[vgprValuA_X3_I0+4], v[vgprValuA_X3_I0+4], v98 // pack two half Vgpr to one Vgpr
v_or_b32 v[vgprValuA_X3_I0+5], v[vgprValuA_X3_I0+5], v99 // pack two half Vgpr to one Vgpr
	;; [unrolled: 1-line block ×4, first 2 shown]
v_mfma_f32_32x32x8bf16_1k a[16+0:31+0], v[vgprValuB_X2_I0+0+2+0:vgprValuB_X2_I0+0+2+0+1], v[vgprValuA_X3_I0+2+0+0:vgprValuA_X3_I0+2+0+0+1], a[16:31]
/*  mfmaIndex:17  */
/* pack scheduling: packAIdx:6, packBIdx:0 */
v_or_b32 v[vgprValuA_X3_I0+8], v[vgprValuA_X3_I0+8], v102 // pack two half Vgpr to one Vgpr
v_or_b32 v[vgprValuA_X3_I0+9], v[vgprValuA_X3_I0+9], v103 // pack two half Vgpr to one Vgpr
v_mfma_f32_32x32x8bf16_1k a[32+0:47+0], v[vgprValuB_X2_I0+0+2+0:vgprValuB_X2_I0+0+2+0+1], v[vgprValuA_X3_I0+4+0+0:vgprValuA_X3_I0+4+0+0+1], a[32:47]
/*  mfmaIndex:18  */
v_mfma_f32_32x32x8bf16_1k a[48+0:63+0], v[vgprValuB_X2_I0+0+2+0:vgprValuB_X2_I0+0+2+0+1], v[vgprValuA_X3_I0+6+0+0:vgprValuA_X3_I0+6+0+0+1], a[48:63]
/*  mfmaIndex:19  */
v_mfma_f32_32x32x8bf16_1k a[64+0:79+0], v[vgprValuB_X2_I0+0+2+0:vgprValuB_X2_I0+0+2+0+1], v[vgprValuA_X3_I0+8+0+0:vgprValuA_X3_I0+8+0+0+1], a[64:79]
/* numPrefetchIter=0 */
/* dataAtIterA=2 numReadsIterA=3 skipReadsIterA=0 readsPerIterA=20 */
/* dataAtIterB=0 numReadsIterB=1 skipReadsIterB=0 readsPerIterB=1 */

PrefetchGlobalLastIterEnd_5:


/******************************************/
/* Tail Loop                              */
/******************************************/


/* local write reset offsets a */

v_and_b32 v[vgprLocalWriteAddrA], 0xf07fff, v[vgprLocalWriteAddrA] // reset to Red


/* local write reset offsets b */

v_and_b32 v[vgprLocalWriteAddrB], 0xf07fff, v[vgprLocalWriteAddrB] // reset to Red


//numIterL = (((sizeL % LOCAL_DEPTHU) + LOCAL_SPLITU - 1) / LOCAL_SPLITU)
s_and_b32 s[sgprLoopCounterL], 31, s[sgprSizesSum+0] // s[sgprLoopCounterL] = s[sgprSizesSum+0] % 32
s_cmp_lg_u32 s[sgprGSUSumIdx], s[sgprGSUSumIdx+1]  // gsuSumIdx == numIterPerWgRemainder
s_cmov_b32 s[sgprLoopCounterL], 0x0                // numIter=0 if gsuSumIdx!=remainder
s_cmp_eq_u32 s[sgprLoopCounterL], 0x0              // numIterL == 0
s_cbranch_scc1 SkipTailLoopL_8                     // skip to end of tail loop b/c numIter==0
s_mov_b32 s[sgprOrigLoopCounter], 0                // repurpose to count each localRead increment


/* remove stagger offsets for tail loop */

s_mov_b32 s66, 3                                   // 
s_mul_hi_u32 s65, s66, s[sgprGlobalReadIncsA+0]    // 3 * GlobalReadIncs
s_mul_i32 s64, s66, s[sgprGlobalReadIncsA+0]       // 3 * GlobalReadIncs
s_mul_hi_u32 s67, s[sgprStaggerUIter], s[sgprGlobalReadIncsA+0] // StaggerUIter * GlobalReadIncs
s_mul_i32 s66, s[sgprStaggerUIter], s[sgprGlobalReadIncsA+0] // StaggerUIter * GlobalReadIncs
s_sub_u32 s64, s64, s66                            // start offset S in bytes
s_subb_u32 s65, s65, s67                           // start offset S in bytes
s_sub_u32 s64, s64, s[sgprWrapUA]                  // S - WrapU
s_subb_u32 s65, s65, s[sgprWrapUA+1]               // S - WrapU
s_add_u32 s[sgprSrdA+0], s[sgprSrdA+0], s64        // gra SRD += inc(lower)
s_addc_u32  s[sgprSrdA+1], s[sgprSrdA+1], s65      // gra SRD += inc(upper)
s_sub_u32 s[sgprShadowLimitA+0], s[sgprShadowLimitA+0], s64 // limit -= inc)
s_subb_u32 s[sgprShadowLimitA+1], s[sgprShadowLimitA+1], s65 // limit -= inc)
s_cmp_eq_u32 s[sgprShadowLimitA+1], 0              // are we within 2^32?
s_cselect_b32 s[sgprSrdA+2], s[sgprShadowLimitA+0], BufferLimitA // Move shadow to real if we are within 2^32

s_mov_b32 s66, 3                                   // 
s_mul_hi_u32 s65, s66, s[sgprGlobalReadIncsB+0]    // 3 * GlobalReadIncs
s_mul_i32 s64, s66, s[sgprGlobalReadIncsB+0]       // 3 * GlobalReadIncs
s_mul_hi_u32 s67, s[sgprStaggerUIter], s[sgprGlobalReadIncsB+0] // StaggerUIter * GlobalReadIncs
s_mul_i32 s66, s[sgprStaggerUIter], s[sgprGlobalReadIncsB+0] // StaggerUIter * GlobalReadIncs
s_sub_u32 s64, s64, s66                            // start offset S in bytes
s_subb_u32 s65, s65, s67                           // start offset S in bytes
s_sub_u32 s64, s64, s[sgprWrapUB]                  // S - WrapU
s_subb_u32 s65, s65, s[sgprWrapUB+1]               // S - WrapU
s_add_u32 s[sgprSrdB+0], s[sgprSrdB+0], s64        // gra SRD += inc(lower)
s_addc_u32  s[sgprSrdB+1], s[sgprSrdB+1], s65      // gra SRD += inc(upper)
s_sub_u32 s[sgprShadowLimitB+0], s[sgprShadowLimitB+0], s64 // limit -= inc)
s_subb_u32 s[sgprShadowLimitB+1], s[sgprShadowLimitB+1], s65 // limit -= inc)
s_cmp_eq_u32 s[sgprShadowLimitB+1], 0              // are we within 2^32?
s_cselect_b32 s[sgprSrdB+2], s[sgprShadowLimitB+0], BufferLimitB // Move shadow to real if we are within 2^32


/* Update M0 for DTLDS */


	;; [unrolled: 1-line block ×3, first 2 shown]
/* global read a */

/* g2l=0, load component 0 */
_buffer_load_d16_b16 v[vgprG2LA+0+0], v[vgprGlobalReadOffsetA+0], s[sgprSrdA:sgprSrdA+3], 0, offen offset:0 // load one buffer value
/* g2l=0, load component 1 */
_buffer_load_d16_hi_b16 v84, v[vgprGlobalReadOffsetA+0], s[sgprSrdA:sgprSrdA+3], 0, offen offset:2 // load one buffer value
s_waitcnt vmcnt(0)
v_or_b32 v[vgprG2LA+0+0], v[vgprG2LA+0+0], v84 // HasEccHalf: pack
/* g2l=0, load component 2 */
_buffer_load_d16_b16 v[vgprG2LA+0+1], v[vgprGlobalReadOffsetA+0], s[sgprSrdA:sgprSrdA+3], 0, offen offset:4 // load one buffer value
/* g2l=0, load component 3 */
_buffer_load_d16_hi_b16 v84, v[vgprGlobalReadOffsetA+0], s[sgprSrdA:sgprSrdA+3], 0, offen offset:6 // load one buffer value
s_waitcnt vmcnt(0)
v_or_b32 v[vgprG2LA+0+1], v[vgprG2LA+0+1], v84 // HasEccHalf: pack
	;; [unrolled: 6-line block ×10, first 2 shown]


/* Update M0 for DTLDS */


	;; [unrolled: 1-line block ×3, first 2 shown]
/* global read b */

/* g2l=0, load component 0 */
_buffer_load_d16_b16 v[vgprG2LB+0+0], v[vgprGlobalReadOffsetB+0], s[sgprSrdB:sgprSrdB+3], 0, offen offset:0 // load one buffer value
/* g2l=0, load component 1 */
_buffer_load_d16_hi_b16 v84, v[vgprGlobalReadOffsetB+0], s[sgprSrdB:sgprSrdB+3], 0, offen offset:2 // load one buffer value
s_waitcnt vmcnt(0)
v_or_b32 v[vgprG2LB+0+0], v[vgprG2LB+0+0], v84 // HasEccHalf: pack
/* g2l=0, load component 2 */
_buffer_load_d16_b16 v[vgprG2LB+0+1], v[vgprGlobalReadOffsetB+0], s[sgprSrdB:sgprSrdB+3], 0, offen offset:4 // load one buffer value
/* g2l=0, load component 3 */
_buffer_load_d16_hi_b16 v84, v[vgprGlobalReadOffsetB+0], s[sgprSrdB:sgprSrdB+3], 0, offen offset:6 // load one buffer value
s_waitcnt vmcnt(0)
v_or_b32 v[vgprG2LB+0+1], v[vgprG2LB+0+1], v84 // HasEccHalf: pack
	;; [unrolled: 6-line block ×8, first 2 shown]

s_waitcnt vmcnt(0)                                 // lgkmcnt=-1 vmcnt=02wait for global read

// Skip force waitcnt0
s_barrier //


/* Done global A/B reads */


	;; [unrolled: 1-line block ×4, first 2 shown]
/* local write a */

v_cvt_f32_f16 v[vgprG2Lpipe0], v[vgprG2LA+0]       // 
v_cmp_u_f32 s[sgprFp16AltNanCheck:sgprFp16AltNanCheck+1], v[vgprG2Lpipe0], v[vgprG2Lpipe0] // check NaN
v_add_u32 v[vgprFp16AltTmp], s[sgprFp16AltOffset], v[vgprG2Lpipe0] // 
v_cndmask_b32 v[vgprG2Lpipe0], v[vgprFp16AltTmp], v[vgprG2Lpipe0], s[sgprFp16AltNanCheck:sgprFp16AltNanCheck+1] // 
v_cvt_f32_f16 v[vgprG2Lpipe1], v[vgprG2LA+0], src0_sel:WORD_1 // 
v_cmp_u_f32 s[sgprFp16AltNanCheck:sgprFp16AltNanCheck+1], v[vgprG2Lpipe1], v[vgprG2Lpipe1] // check NaN
v_add_u32 v[vgprFp16AltTmp], s[sgprFp16AltOffset], v[vgprG2Lpipe1] // 
v_cndmask_b32 v[vgprG2Lpipe1], v[vgprFp16AltTmp], v[vgprG2Lpipe1], s[sgprFp16AltNanCheck:sgprFp16AltNanCheck+1] // 
v_pack_b32_f16 v[vgprG2LA+0], v[vgprG2Lpipe0], v[vgprG2Lpipe1], op_sel:[1,1,0] // 
v_cvt_f32_f16 v[vgprG2Lpipe0], v[vgprG2LA+1]       // 
v_cmp_u_f32 s[sgprFp16AltNanCheck:sgprFp16AltNanCheck+1], v[vgprG2Lpipe0], v[vgprG2Lpipe0] // check NaN
v_add_u32 v[vgprFp16AltTmp], s[sgprFp16AltOffset], v[vgprG2Lpipe0] // 
v_cndmask_b32 v[vgprG2Lpipe0], v[vgprFp16AltTmp], v[vgprG2Lpipe0], s[sgprFp16AltNanCheck:sgprFp16AltNanCheck+1] // 
v_cvt_f32_f16 v[vgprG2Lpipe1], v[vgprG2LA+1], src0_sel:WORD_1 // 
v_cmp_u_f32 s[sgprFp16AltNanCheck:sgprFp16AltNanCheck+1], v[vgprG2Lpipe1], v[vgprG2Lpipe1] // check NaN
v_add_u32 v[vgprFp16AltTmp], s[sgprFp16AltOffset], v[vgprG2Lpipe1] // 
v_cndmask_b32 v[vgprG2Lpipe1], v[vgprFp16AltTmp], v[vgprG2Lpipe1], s[sgprFp16AltNanCheck:sgprFp16AltNanCheck+1] // 
v_pack_b32_f16 v[vgprG2LA+1], v[vgprG2Lpipe0], v[vgprG2Lpipe1], op_sel:[1,1,0] // 
_ds_store_b64 v[vgprLocalWriteAddrA], v[vgprG2LA+0:vgprG2LA+0+1] offset:0 // lwoA_0_0_0_0 = (0*LSCA) + (0*LSPA)(*MT0I+PAD) = 0
v_cvt_f32_f16 v[vgprG2Lpipe0], v[vgprG2LA+2]       // 
v_cmp_u_f32 s[sgprFp16AltNanCheck:sgprFp16AltNanCheck+1], v[vgprG2Lpipe0], v[vgprG2Lpipe0] // check NaN
v_add_u32 v[vgprFp16AltTmp], s[sgprFp16AltOffset], v[vgprG2Lpipe0] // 
v_cndmask_b32 v[vgprG2Lpipe0], v[vgprFp16AltTmp], v[vgprG2Lpipe0], s[sgprFp16AltNanCheck:sgprFp16AltNanCheck+1] // 
v_cvt_f32_f16 v[vgprG2Lpipe1], v[vgprG2LA+2], src0_sel:WORD_1 // 
v_cmp_u_f32 s[sgprFp16AltNanCheck:sgprFp16AltNanCheck+1], v[vgprG2Lpipe1], v[vgprG2Lpipe1] // check NaN
v_add_u32 v[vgprFp16AltTmp], s[sgprFp16AltOffset], v[vgprG2Lpipe1] // 
v_cndmask_b32 v[vgprG2Lpipe1], v[vgprFp16AltTmp], v[vgprG2Lpipe1], s[sgprFp16AltNanCheck:sgprFp16AltNanCheck+1] // 
v_pack_b32_f16 v[vgprG2LA+2], v[vgprG2Lpipe0], v[vgprG2Lpipe1], op_sel:[1,1,0] // 
v_cvt_f32_f16 v[vgprG2Lpipe0], v[vgprG2LA+3]       // 
v_cmp_u_f32 s[sgprFp16AltNanCheck:sgprFp16AltNanCheck+1], v[vgprG2Lpipe0], v[vgprG2Lpipe0] // check NaN
v_add_u32 v[vgprFp16AltTmp], s[sgprFp16AltOffset], v[vgprG2Lpipe0] // 
v_cndmask_b32 v[vgprG2Lpipe0], v[vgprFp16AltTmp], v[vgprG2Lpipe0], s[sgprFp16AltNanCheck:sgprFp16AltNanCheck+1] // 
v_cvt_f32_f16 v[vgprG2Lpipe1], v[vgprG2LA+3], src0_sel:WORD_1 // 
v_cmp_u_f32 s[sgprFp16AltNanCheck:sgprFp16AltNanCheck+1], v[vgprG2Lpipe1], v[vgprG2Lpipe1] // check NaN
v_add_u32 v[vgprFp16AltTmp], s[sgprFp16AltOffset], v[vgprG2Lpipe1] // 
v_cndmask_b32 v[vgprG2Lpipe1], v[vgprFp16AltTmp], v[vgprG2Lpipe1], s[sgprFp16AltNanCheck:sgprFp16AltNanCheck+1] // 
v_pack_b32_f16 v[vgprG2LA+3], v[vgprG2Lpipe0], v[vgprG2Lpipe1], op_sel:[1,1,0] // 
_ds_store_b64 v[vgprLocalWriteAddrA], v[vgprG2LA+2:vgprG2LA+2+1] offset:64 // lwoA_1_0_0_0 = (1*LSCA) + (0*LSPA)(*MT0I+PAD) = 64
v_cvt_f32_f16 v[vgprG2Lpipe0], v[vgprG2LA+4]       // 
v_cmp_u_f32 s[sgprFp16AltNanCheck:sgprFp16AltNanCheck+1], v[vgprG2Lpipe0], v[vgprG2Lpipe0] // check NaN
v_add_u32 v[vgprFp16AltTmp], s[sgprFp16AltOffset], v[vgprG2Lpipe0] // 
v_cndmask_b32 v[vgprG2Lpipe0], v[vgprFp16AltTmp], v[vgprG2Lpipe0], s[sgprFp16AltNanCheck:sgprFp16AltNanCheck+1] // 
v_cvt_f32_f16 v[vgprG2Lpipe1], v[vgprG2LA+4], src0_sel:WORD_1 // 
v_cmp_u_f32 s[sgprFp16AltNanCheck:sgprFp16AltNanCheck+1], v[vgprG2Lpipe1], v[vgprG2Lpipe1] // check NaN
v_add_u32 v[vgprFp16AltTmp], s[sgprFp16AltOffset], v[vgprG2Lpipe1] // 
v_cndmask_b32 v[vgprG2Lpipe1], v[vgprFp16AltTmp], v[vgprG2Lpipe1], s[sgprFp16AltNanCheck:sgprFp16AltNanCheck+1] // 
v_pack_b32_f16 v[vgprG2LA+4], v[vgprG2Lpipe0], v[vgprG2Lpipe1], op_sel:[1,1,0] // 
v_cvt_f32_f16 v[vgprG2Lpipe0], v[vgprG2LA+5]       // 
v_cmp_u_f32 s[sgprFp16AltNanCheck:sgprFp16AltNanCheck+1], v[vgprG2Lpipe0], v[vgprG2Lpipe0] // check NaN
v_add_u32 v[vgprFp16AltTmp], s[sgprFp16AltOffset], v[vgprG2Lpipe0] // 
v_cndmask_b32 v[vgprG2Lpipe0], v[vgprFp16AltTmp], v[vgprG2Lpipe0], s[sgprFp16AltNanCheck:sgprFp16AltNanCheck+1] // 
v_cvt_f32_f16 v[vgprG2Lpipe1], v[vgprG2LA+5], src0_sel:WORD_1 // 
v_cmp_u_f32 s[sgprFp16AltNanCheck:sgprFp16AltNanCheck+1], v[vgprG2Lpipe1], v[vgprG2Lpipe1] // check NaN
v_add_u32 v[vgprFp16AltTmp], s[sgprFp16AltOffset], v[vgprG2Lpipe1] // 
v_cndmask_b32 v[vgprG2Lpipe1], v[vgprFp16AltTmp], v[vgprG2Lpipe1], s[sgprFp16AltNanCheck:sgprFp16AltNanCheck+1] // 
v_pack_b32_f16 v[vgprG2LA+5], v[vgprG2Lpipe0], v[vgprG2Lpipe1], op_sel:[1,1,0] // 
_ds_store_b64 v[vgprLocalWriteAddrA], v[vgprG2LA+4:vgprG2LA+4+1] offset:128 // lwoA_2_0_0_0 = (2*LSCA) + (0*LSPA)(*MT0I+PAD) = 128
v_cvt_f32_f16 v[vgprG2Lpipe0], v[vgprG2LA+6]       // 
v_cmp_u_f32 s[sgprFp16AltNanCheck:sgprFp16AltNanCheck+1], v[vgprG2Lpipe0], v[vgprG2Lpipe0] // check NaN
v_add_u32 v[vgprFp16AltTmp], s[sgprFp16AltOffset], v[vgprG2Lpipe0] // 
v_cndmask_b32 v[vgprG2Lpipe0], v[vgprFp16AltTmp], v[vgprG2Lpipe0], s[sgprFp16AltNanCheck:sgprFp16AltNanCheck+1] // 
v_cvt_f32_f16 v[vgprG2Lpipe1], v[vgprG2LA+6], src0_sel:WORD_1 // 
v_cmp_u_f32 s[sgprFp16AltNanCheck:sgprFp16AltNanCheck+1], v[vgprG2Lpipe1], v[vgprG2Lpipe1] // check NaN
v_add_u32 v[vgprFp16AltTmp], s[sgprFp16AltOffset], v[vgprG2Lpipe1] // 
v_cndmask_b32 v[vgprG2Lpipe1], v[vgprFp16AltTmp], v[vgprG2Lpipe1], s[sgprFp16AltNanCheck:sgprFp16AltNanCheck+1] // 
v_pack_b32_f16 v[vgprG2LA+6], v[vgprG2Lpipe0], v[vgprG2Lpipe1], op_sel:[1,1,0] // 
v_cvt_f32_f16 v[vgprG2Lpipe0], v[vgprG2LA+7]       // 
v_cmp_u_f32 s[sgprFp16AltNanCheck:sgprFp16AltNanCheck+1], v[vgprG2Lpipe0], v[vgprG2Lpipe0] // check NaN
v_add_u32 v[vgprFp16AltTmp], s[sgprFp16AltOffset], v[vgprG2Lpipe0] // 
v_cndmask_b32 v[vgprG2Lpipe0], v[vgprFp16AltTmp], v[vgprG2Lpipe0], s[sgprFp16AltNanCheck:sgprFp16AltNanCheck+1] // 
v_cvt_f32_f16 v[vgprG2Lpipe1], v[vgprG2LA+7], src0_sel:WORD_1 // 
v_cmp_u_f32 s[sgprFp16AltNanCheck:sgprFp16AltNanCheck+1], v[vgprG2Lpipe1], v[vgprG2Lpipe1] // check NaN
v_add_u32 v[vgprFp16AltTmp], s[sgprFp16AltOffset], v[vgprG2Lpipe1] // 
v_cndmask_b32 v[vgprG2Lpipe1], v[vgprFp16AltTmp], v[vgprG2Lpipe1], s[sgprFp16AltNanCheck:sgprFp16AltNanCheck+1] // 
v_pack_b32_f16 v[vgprG2LA+7], v[vgprG2Lpipe0], v[vgprG2Lpipe1], op_sel:[1,1,0] // 
_ds_store_b64 v[vgprLocalWriteAddrA], v[vgprG2LA+6:vgprG2LA+6+1] offset:192 // lwoA_3_0_0_0 = (3*LSCA) + (0*LSPA)(*MT0I+PAD) = 192
v_cvt_f32_f16 v[vgprG2Lpipe0], v[vgprG2LA+8]       // 
v_cmp_u_f32 s[sgprFp16AltNanCheck:sgprFp16AltNanCheck+1], v[vgprG2Lpipe0], v[vgprG2Lpipe0] // check NaN
v_add_u32 v[vgprFp16AltTmp], s[sgprFp16AltOffset], v[vgprG2Lpipe0] // 
v_cndmask_b32 v[vgprG2Lpipe0], v[vgprFp16AltTmp], v[vgprG2Lpipe0], s[sgprFp16AltNanCheck:sgprFp16AltNanCheck+1] // 
v_cvt_f32_f16 v[vgprG2Lpipe1], v[vgprG2LA+8], src0_sel:WORD_1 // 
v_cmp_u_f32 s[sgprFp16AltNanCheck:sgprFp16AltNanCheck+1], v[vgprG2Lpipe1], v[vgprG2Lpipe1] // check NaN
v_add_u32 v[vgprFp16AltTmp], s[sgprFp16AltOffset], v[vgprG2Lpipe1] // 
v_cndmask_b32 v[vgprG2Lpipe1], v[vgprFp16AltTmp], v[vgprG2Lpipe1], s[sgprFp16AltNanCheck:sgprFp16AltNanCheck+1] // 
v_pack_b32_f16 v[vgprG2LA+8], v[vgprG2Lpipe0], v[vgprG2Lpipe1], op_sel:[1,1,0] // 
v_cvt_f32_f16 v[vgprG2Lpipe0], v[vgprG2LA+9]       // 
v_cmp_u_f32 s[sgprFp16AltNanCheck:sgprFp16AltNanCheck+1], v[vgprG2Lpipe0], v[vgprG2Lpipe0] // check NaN
v_add_u32 v[vgprFp16AltTmp], s[sgprFp16AltOffset], v[vgprG2Lpipe0] // 
v_cndmask_b32 v[vgprG2Lpipe0], v[vgprFp16AltTmp], v[vgprG2Lpipe0], s[sgprFp16AltNanCheck:sgprFp16AltNanCheck+1] // 
v_cvt_f32_f16 v[vgprG2Lpipe1], v[vgprG2LA+9], src0_sel:WORD_1 // 
v_cmp_u_f32 s[sgprFp16AltNanCheck:sgprFp16AltNanCheck+1], v[vgprG2Lpipe1], v[vgprG2Lpipe1] // check NaN
v_add_u32 v[vgprFp16AltTmp], s[sgprFp16AltOffset], v[vgprG2Lpipe1] // 
v_cndmask_b32 v[vgprG2Lpipe1], v[vgprFp16AltTmp], v[vgprG2Lpipe1], s[sgprFp16AltNanCheck:sgprFp16AltNanCheck+1] // 
v_pack_b32_f16 v[vgprG2LA+9], v[vgprG2Lpipe0], v[vgprG2Lpipe1], op_sel:[1,1,0] // 
_ds_store_b64 v[vgprLocalWriteAddrA], v[vgprG2LA+8:vgprG2LA+8+1] offset:256 // lwoA_4_0_0_0 = (4*LSCA) + (0*LSPA)(*MT0I+PAD) = 256


/* local write b */

v_cvt_f32_f16 v[vgprG2Lpipe0], v[vgprG2LB+0]       // 
v_cmp_u_f32 s[sgprFp16AltNanCheck:sgprFp16AltNanCheck+1], v[vgprG2Lpipe0], v[vgprG2Lpipe0] // check NaN
v_add_u32 v[vgprFp16AltTmp], s[sgprFp16AltOffset], v[vgprG2Lpipe0] // 
v_cndmask_b32 v[vgprG2Lpipe0], v[vgprFp16AltTmp], v[vgprG2Lpipe0], s[sgprFp16AltNanCheck:sgprFp16AltNanCheck+1] // 
v_cvt_f32_f16 v[vgprG2Lpipe1], v[vgprG2LB+0], src0_sel:WORD_1 // 
v_cmp_u_f32 s[sgprFp16AltNanCheck:sgprFp16AltNanCheck+1], v[vgprG2Lpipe1], v[vgprG2Lpipe1] // check NaN
v_add_u32 v[vgprFp16AltTmp], s[sgprFp16AltOffset], v[vgprG2Lpipe1] // 
v_cndmask_b32 v[vgprG2Lpipe1], v[vgprFp16AltTmp], v[vgprG2Lpipe1], s[sgprFp16AltNanCheck:sgprFp16AltNanCheck+1] // 
v_pack_b32_f16 v[vgprG2LB+0], v[vgprG2Lpipe0], v[vgprG2Lpipe1], op_sel:[1,1,0] // 
v_cvt_f32_f16 v[vgprG2Lpipe0], v[vgprG2LB+1]       // 
v_cmp_u_f32 s[sgprFp16AltNanCheck:sgprFp16AltNanCheck+1], v[vgprG2Lpipe0], v[vgprG2Lpipe0] // check NaN
v_add_u32 v[vgprFp16AltTmp], s[sgprFp16AltOffset], v[vgprG2Lpipe0] // 
v_cndmask_b32 v[vgprG2Lpipe0], v[vgprFp16AltTmp], v[vgprG2Lpipe0], s[sgprFp16AltNanCheck:sgprFp16AltNanCheck+1] // 
v_cvt_f32_f16 v[vgprG2Lpipe1], v[vgprG2LB+1], src0_sel:WORD_1 // 
v_cmp_u_f32 s[sgprFp16AltNanCheck:sgprFp16AltNanCheck+1], v[vgprG2Lpipe1], v[vgprG2Lpipe1] // check NaN
v_add_u32 v[vgprFp16AltTmp], s[sgprFp16AltOffset], v[vgprG2Lpipe1] // 
v_cndmask_b32 v[vgprG2Lpipe1], v[vgprFp16AltTmp], v[vgprG2Lpipe1], s[sgprFp16AltNanCheck:sgprFp16AltNanCheck+1] // 
v_pack_b32_f16 v[vgprG2LB+1], v[vgprG2Lpipe0], v[vgprG2Lpipe1], op_sel:[1,1,0] // 
_ds_store_b64 v[vgprLocalWriteAddrB], v[vgprG2LB+0:vgprG2LB+0+1] offset:0 // lwoB_0_0_0_0 = (0*LSCB)*(MT1J+PAD) + (0*LSPB) = 0
v_cvt_f32_f16 v[vgprG2Lpipe0], v[vgprG2LB+2]       // 
v_cmp_u_f32 s[sgprFp16AltNanCheck:sgprFp16AltNanCheck+1], v[vgprG2Lpipe0], v[vgprG2Lpipe0] // check NaN
v_add_u32 v[vgprFp16AltTmp], s[sgprFp16AltOffset], v[vgprG2Lpipe0] // 
v_cndmask_b32 v[vgprG2Lpipe0], v[vgprFp16AltTmp], v[vgprG2Lpipe0], s[sgprFp16AltNanCheck:sgprFp16AltNanCheck+1] // 
v_cvt_f32_f16 v[vgprG2Lpipe1], v[vgprG2LB+2], src0_sel:WORD_1 // 
v_cmp_u_f32 s[sgprFp16AltNanCheck:sgprFp16AltNanCheck+1], v[vgprG2Lpipe1], v[vgprG2Lpipe1] // check NaN
v_add_u32 v[vgprFp16AltTmp], s[sgprFp16AltOffset], v[vgprG2Lpipe1] // 
v_cndmask_b32 v[vgprG2Lpipe1], v[vgprFp16AltTmp], v[vgprG2Lpipe1], s[sgprFp16AltNanCheck:sgprFp16AltNanCheck+1] // 
v_pack_b32_f16 v[vgprG2LB+2], v[vgprG2Lpipe0], v[vgprG2Lpipe1], op_sel:[1,1,0] // 
v_cvt_f32_f16 v[vgprG2Lpipe0], v[vgprG2LB+3]       // 
v_cmp_u_f32 s[sgprFp16AltNanCheck:sgprFp16AltNanCheck+1], v[vgprG2Lpipe0], v[vgprG2Lpipe0] // check NaN
v_add_u32 v[vgprFp16AltTmp], s[sgprFp16AltOffset], v[vgprG2Lpipe0] // 
v_cndmask_b32 v[vgprG2Lpipe0], v[vgprFp16AltTmp], v[vgprG2Lpipe0], s[sgprFp16AltNanCheck:sgprFp16AltNanCheck+1] // 
v_cvt_f32_f16 v[vgprG2Lpipe1], v[vgprG2LB+3], src0_sel:WORD_1 // 
v_cmp_u_f32 s[sgprFp16AltNanCheck:sgprFp16AltNanCheck+1], v[vgprG2Lpipe1], v[vgprG2Lpipe1] // check NaN
v_add_u32 v[vgprFp16AltTmp], s[sgprFp16AltOffset], v[vgprG2Lpipe1] // 
v_cndmask_b32 v[vgprG2Lpipe1], v[vgprFp16AltTmp], v[vgprG2Lpipe1], s[sgprFp16AltNanCheck:sgprFp16AltNanCheck+1] // 
v_pack_b32_f16 v[vgprG2LB+3], v[vgprG2Lpipe0], v[vgprG2Lpipe1], op_sel:[1,1,0] // 
_ds_store_b64 v[vgprLocalWriteAddrB], v[vgprG2LB+2:vgprG2LB+2+1] offset:576 // lwoB_0_0_1_0 = (0*LSCB)*(MT1J+PAD) + (1*LSPB) = 576
v_cvt_f32_f16 v[vgprG2Lpipe0], v[vgprG2LB+4]       // 
v_cmp_u_f32 s[sgprFp16AltNanCheck:sgprFp16AltNanCheck+1], v[vgprG2Lpipe0], v[vgprG2Lpipe0] // check NaN
v_add_u32 v[vgprFp16AltTmp], s[sgprFp16AltOffset], v[vgprG2Lpipe0] // 
v_cndmask_b32 v[vgprG2Lpipe0], v[vgprFp16AltTmp], v[vgprG2Lpipe0], s[sgprFp16AltNanCheck:sgprFp16AltNanCheck+1] // 
v_cvt_f32_f16 v[vgprG2Lpipe1], v[vgprG2LB+4], src0_sel:WORD_1 // 
v_cmp_u_f32 s[sgprFp16AltNanCheck:sgprFp16AltNanCheck+1], v[vgprG2Lpipe1], v[vgprG2Lpipe1] // check NaN
v_add_u32 v[vgprFp16AltTmp], s[sgprFp16AltOffset], v[vgprG2Lpipe1] // 
v_cndmask_b32 v[vgprG2Lpipe1], v[vgprFp16AltTmp], v[vgprG2Lpipe1], s[sgprFp16AltNanCheck:sgprFp16AltNanCheck+1] // 
v_pack_b32_f16 v[vgprG2LB+4], v[vgprG2Lpipe0], v[vgprG2Lpipe1], op_sel:[1,1,0] // 
v_cvt_f32_f16 v[vgprG2Lpipe0], v[vgprG2LB+5]       // 
v_cmp_u_f32 s[sgprFp16AltNanCheck:sgprFp16AltNanCheck+1], v[vgprG2Lpipe0], v[vgprG2Lpipe0] // check NaN
v_add_u32 v[vgprFp16AltTmp], s[sgprFp16AltOffset], v[vgprG2Lpipe0] // 
v_cndmask_b32 v[vgprG2Lpipe0], v[vgprFp16AltTmp], v[vgprG2Lpipe0], s[sgprFp16AltNanCheck:sgprFp16AltNanCheck+1] // 
v_cvt_f32_f16 v[vgprG2Lpipe1], v[vgprG2LB+5], src0_sel:WORD_1 // 
v_cmp_u_f32 s[sgprFp16AltNanCheck:sgprFp16AltNanCheck+1], v[vgprG2Lpipe1], v[vgprG2Lpipe1] // check NaN
v_add_u32 v[vgprFp16AltTmp], s[sgprFp16AltOffset], v[vgprG2Lpipe1] // 
v_cndmask_b32 v[vgprG2Lpipe1], v[vgprFp16AltTmp], v[vgprG2Lpipe1], s[sgprFp16AltNanCheck:sgprFp16AltNanCheck+1] // 
v_pack_b32_f16 v[vgprG2LB+5], v[vgprG2Lpipe0], v[vgprG2Lpipe1], op_sel:[1,1,0] // 
_ds_store_b64 v[vgprLocalWriteAddrB], v[vgprG2LB+4:vgprG2LB+4+1] offset:1152 // lwoB_0_0_2_0 = (0*LSCB)*(MT1J+PAD) + (2*LSPB) = 1152
v_cvt_f32_f16 v[vgprG2Lpipe0], v[vgprG2LB+6]       // 
v_cmp_u_f32 s[sgprFp16AltNanCheck:sgprFp16AltNanCheck+1], v[vgprG2Lpipe0], v[vgprG2Lpipe0] // check NaN
v_add_u32 v[vgprFp16AltTmp], s[sgprFp16AltOffset], v[vgprG2Lpipe0] // 
v_cndmask_b32 v[vgprG2Lpipe0], v[vgprFp16AltTmp], v[vgprG2Lpipe0], s[sgprFp16AltNanCheck:sgprFp16AltNanCheck+1] // 
v_cvt_f32_f16 v[vgprG2Lpipe1], v[vgprG2LB+6], src0_sel:WORD_1 // 
v_cmp_u_f32 s[sgprFp16AltNanCheck:sgprFp16AltNanCheck+1], v[vgprG2Lpipe1], v[vgprG2Lpipe1] // check NaN
v_add_u32 v[vgprFp16AltTmp], s[sgprFp16AltOffset], v[vgprG2Lpipe1] // 
v_cndmask_b32 v[vgprG2Lpipe1], v[vgprFp16AltTmp], v[vgprG2Lpipe1], s[sgprFp16AltNanCheck:sgprFp16AltNanCheck+1] // 
v_pack_b32_f16 v[vgprG2LB+6], v[vgprG2Lpipe0], v[vgprG2Lpipe1], op_sel:[1,1,0] // 
v_cvt_f32_f16 v[vgprG2Lpipe0], v[vgprG2LB+7]       // 
v_cmp_u_f32 s[sgprFp16AltNanCheck:sgprFp16AltNanCheck+1], v[vgprG2Lpipe0], v[vgprG2Lpipe0] // check NaN
v_add_u32 v[vgprFp16AltTmp], s[sgprFp16AltOffset], v[vgprG2Lpipe0] // 
v_cndmask_b32 v[vgprG2Lpipe0], v[vgprFp16AltTmp], v[vgprG2Lpipe0], s[sgprFp16AltNanCheck:sgprFp16AltNanCheck+1] // 
v_cvt_f32_f16 v[vgprG2Lpipe1], v[vgprG2LB+7], src0_sel:WORD_1 // 
v_cmp_u_f32 s[sgprFp16AltNanCheck:sgprFp16AltNanCheck+1], v[vgprG2Lpipe1], v[vgprG2Lpipe1] // check NaN
v_add_u32 v[vgprFp16AltTmp], s[sgprFp16AltOffset], v[vgprG2Lpipe1] // 
v_cndmask_b32 v[vgprG2Lpipe1], v[vgprFp16AltTmp], v[vgprG2Lpipe1], s[sgprFp16AltNanCheck:sgprFp16AltNanCheck+1] // 
v_pack_b32_f16 v[vgprG2LB+7], v[vgprG2Lpipe0], v[vgprG2Lpipe1], op_sel:[1,1,0] // 
_ds_store_b64 v[vgprLocalWriteAddrB], v[vgprG2LB+6:vgprG2LB+6+1] offset:1728 // lwoB_0_0_3_0 = (0*LSCB)*(MT1J+PAD) + (3*LSPB) = 1728


/* Recalc local read offsets */

/*lr0I*/
v_and_b32 v85, 63, v[vgprSerial]                   // 0. thread id in wave: wtid = tid % wavelength(64)
v_and_b32 v84, 31, v85                             // 1. N offset: nIdx = wtid % MI_N(32)
                                                   // 1. N offset: nOffset = nIdx * nStride(1) (multiplier is 1, do nothing)
                                                   // 2. block offset: bnIdx = bnIdx % num1DBlocks(1) is 0. do nothing
                                                   // 4. apply VectorWidth: bnOffset = bnOffset * vw(1) (multiplier is 1, do nothing)
v_lshrrev_b32 v85, 5, v85                          // 5. K offset: kIdx = wtid / (MIN(32) * MIBB(1))
s_mov_b32 s10, 0x280                               // 5. K offset: lrKOffset = kIdx * mStride(640)
v_mul_lo_u32 v85, s10, v85                         // 5. K offset: lrKOffset = kIdx * mStride(640)
_v_add_u32 v84, v85, v84                           // 6. offset in wave: lrOffset = bnOffset + lrKOffset
/*lr1J*/
v_and_b32 v86, 63, v[vgprSerial]                   // 0. thread id in wave: wtid = tid % wavelength(64)
v_and_b32 v85, 31, v86                             // 1. N offset: nIdx = wtid % MI_N(32)
v_lshlrev_b32 v85, 0x5, v85                        // 1. N offset: nOffset = nIdx * nStride(32)
                                                   // 2. block offset: bnIdx = bnIdx % num1DBlocks(1) is 0. do nothing
                                                   // 4. apply VectorWidth: bnOffset = bnOffset * vw(1) (multiplier is 1, do nothing)
v_lshrrev_b32 v86, 5, v86                          // 5. K offset: kIdx = wtid / (MIN(32) * MIBB(1))
v_lshlrev_b32 v86, 0x2, v86                        // 5. K offset: lrKOffset = kIdx * mStride(4)
_v_add_u32 v85, v86, v85                           // 6. offset in wave: lrOffset = bnOffset + lrKOffset
v_lshrrev_b32 v87, 6, v[vgprSerial]                // 7. wave offset in N dimen: wtid = tid / dividedForWaveId(64)
v_and_b32 v86, 3, v87                              // 7. wave offset in M dimen: wtid0 = wtid / num1DWaves(4)
v_lshlrev_b32 v86, 0xa, v86                        // 7. wave offset in M dimen: wOffset = wtid0 * W0Stride(1024)
_v_add_u32 v85, v86, v85                           // 8. final local read offset: flrOffset = lrOffset + WOffset
v_lshlrev_b32 v[vgprLocalReadAddrA], 0x1, v84      // Final Offset: offset = (lro0)*bpe
/* N/A */
v_lshlrev_b32 v[vgprLocalReadAddrB], 0x1, v85      // Final Offset: offset = (lro1)*bpe
v_lshrrev_b32 v84, 7, v[vgprLocalReadAddrB]        // Final Offset: padding 8 per block 128
v_lshlrev_b32 v84, 0x4, v84                        // Final Offset: padding 8 per block 128
_v_add_u32 v[vgprLocalReadAddrB], v84, v[vgprLocalReadAddrB] // Final Offset: add padding 8 per block 128
_v_add_co_u32 v[vgprLocalReadAddrB+0], vcc, 0x2800, v[vgprLocalReadAddrB+0] //  += LdsOffsetB (lower)

s_waitcnt lgkmcnt(0)                               // lgkmcnt=0 vmcnt=-15wait for local write

// Skip force waitcnt0
s_barrier //


/* local read reset offsets a */


/* localReadResetOffsets */
/* handled internally */
v_and_b32 v[vgprLocalReadAddrA], 0x7fff, v[vgprLocalReadAddrA] // reset Red,Blk -> Red


/* local read reset offsets b */


/* localReadResetOffsets */
/* handled internally */
v_and_b32 v[vgprLocalReadAddrB], 0x7fff, v[vgprLocalReadAddrB] // reset Red,Blk -> Red


/* local read init pointers a */


/* localReadInitPointers */


/* local read init pointers b */


/* localReadInitPointers */


/* tail loop: macs */

TailLoopBeginL_6:


/* tail loop unroll iter 0 */


/* local read a */

_ds_load_u16 v[vgprValuA_X0_I0+0], v[vgprLocalReadAddrA] offset:0 // L -> Reg lro=0 swapByteOffset=0 ti=32 vIdx=0 rIdx=0 oIdx=0 buffer=0 iui=0
_ds_load_u16_d16_hi v84, v[vgprLocalReadAddrA] offset:320 // L -> Reg lro=0 swapByteOffset=0 ti=32 vIdx=0 rIdx=1 oIdx=0 buffer=0 iui=0
_ds_load_u16 v[vgprValuA_X0_I0+1], v[vgprLocalReadAddrA] offset:640 // L -> Reg lro=0 swapByteOffset=0 ti=32 vIdx=0 rIdx=2 oIdx=0 buffer=0 iui=0
_ds_load_u16_d16_hi v85, v[vgprLocalReadAddrA] offset:960 // L -> Reg lro=0 swapByteOffset=0 ti=32 vIdx=0 rIdx=3 oIdx=0 buffer=0 iui=0
	;; [unrolled: 2-line block ×10, first 2 shown]


/* local read b */

_ds_load_b64 v[vgprValuB_X0_I0+0:vgprValuB_X0_I0+0+1], v[vgprLocalReadAddrB] offset:0 // L -> Reg lro=0 swapByteOffset=0 ti=128 vIdx=0 rIdx=0 oIdx=0 buffer=0 iui=0


/* local read inc a */

s_mov_b32 s10, 0xa00                               // inc
_v_add_co_u32 v[vgprLocalReadAddrA], vcc, s10, v[vgprLocalReadAddrA] // lrA += 2560 (LSU*(MT+PAD)*bpe)


/* local read inc b */

s_mov_b32 s10, 0x10                                // inc
_v_add_co_u32 v[vgprLocalReadAddrB], vcc, s10, v[vgprLocalReadAddrB] // lrB += 16 (LSU*bpe)

s_waitcnt lgkmcnt(0)                               // lgkmcnt=0 vmcnt=-14wait for local read

v_or_b32 v[vgprValuA_X0_I0+0], v[vgprValuA_X0_I0+0], v84 // pack two half Vgpr to one Vgpr
v_or_b32 v[vgprValuA_X0_I0+1], v[vgprValuA_X0_I0+1], v85 // pack two half Vgpr to one Vgpr
	;; [unrolled: 1-line block ×10, first 2 shown]


/* tail loop mfma iter 0: numReadsIterCoalescedA=1, numReadsIterCoalescedB=1 */
v_and_b32 v84, 63, v[vgprSerial]                   // v84 = v[vgprSerial] % 64
v_lshrrev_b32 v84, 5, v84                          // v84 = v84 / 32
v_lshlrev_b32 v84, 0x2, v84                        // v84 = v84 * 4
v_cmp_ge_i32 s[64:65], v84, s[sgprLoopCounterL]    // check K index >= Size L
v_cndmask_b32 v[vgprValuB_X0_I0+0+0+0+0], v[vgprValuB_X0_I0+0+0+0+0], 0x0, s[64:65] // set 0 if K_idx >= sizeL
v_cndmask_b32 v[vgprValuB_X0_I0+0+0+0+1], v[vgprValuB_X0_I0+0+0+0+1], 0x0, s[64:65] // set 0 if K_idx >= sizeL
_v_sub_u32 v84, s[sgprLoopCounterL], v84           // get distance between size and k index
v_cmp_lt_i32 s[64:65], v84, 4                      // set partial 0 if distance less than input per thread
s_and_b32 s66, s[sgprLoopCounterL], 3              // get inputs for edge thread
s_sub_u32 s66, 4, s66                              // use shift to fill 0 for outside element
s_lshl_b32 s66, s66, 4                             // use shift to fill 0 for outside element
v_mov_b32 v86, -1                                  // set 0xffffffff
v_mov_b32 v87, -1                                  // set 0xffffffff
v_lshrrev_b64 v[86:87], s66, v[86:87]              // rshift mask for partial k
v_cndmask_b32 v86, -1, v86, s[64:65]               // select shifted mask for partial k
v_cndmask_b32 v87, -1, v87, s[64:65]               // select shifted mask for partial k
v_and_b32 v[vgprValuB_X0_I0+0+0+0+0], v[vgprValuB_X0_I0+0+0+0+0], v86 // 
v_and_b32 v[vgprValuB_X0_I0+0+0+0+1], v[vgprValuB_X0_I0+0+0+0+1], v87 // 
s_nop 1
v_mfma_f32_32x32x8bf16_1k a[0+0:15+0], v[vgprValuB_X0_I0+0+0+0:vgprValuB_X0_I0+0+0+0+1], v[vgprValuA_X0_I0+0+0+0:vgprValuA_X0_I0+0+0+0+1], a[0:15]
v_mfma_f32_32x32x8bf16_1k a[16+0:31+0], v[vgprValuB_X0_I0+0+0+0:vgprValuB_X0_I0+0+0+0+1], v[vgprValuA_X0_I0+2+0+0:vgprValuA_X0_I0+2+0+0+1], a[16:31]
	;; [unrolled: 1-line block ×5, first 2 shown]


/* closeLoop loopL finalLoop=0 tailLoop=1 */
s_sub_i32 s[sgprLoopCounterL], s[sgprLoopCounterL], 0x8 // dec counterL (tailLoop)
s_add_u32 s[sgprOrigLoopCounter], s[sgprOrigLoopCounter], 0x8 // inc counterL
s_cmp_le_i32 s[sgprLoopCounterL], 0x0              // counterL<=0
s_cbranch_scc1 TailLoopEndL_7                      // exit LoopL


/* tail loop unroll iter 1 */


/* local read a */

_ds_load_u16 v[vgprValuA_X1_I0+0], v[vgprLocalReadAddrA] offset:0 // L -> Reg lro=0 swapByteOffset=0 ti=32 vIdx=0 rIdx=0 oIdx=0 buffer=1 iui=0
_ds_load_u16_d16_hi v84, v[vgprLocalReadAddrA] offset:320 // L -> Reg lro=0 swapByteOffset=0 ti=32 vIdx=0 rIdx=1 oIdx=0 buffer=1 iui=0
_ds_load_u16 v[vgprValuA_X1_I0+1], v[vgprLocalReadAddrA] offset:640 // L -> Reg lro=0 swapByteOffset=0 ti=32 vIdx=0 rIdx=2 oIdx=0 buffer=1 iui=0
_ds_load_u16_d16_hi v85, v[vgprLocalReadAddrA] offset:960 // L -> Reg lro=0 swapByteOffset=0 ti=32 vIdx=0 rIdx=3 oIdx=0 buffer=1 iui=0
	;; [unrolled: 2-line block ×10, first 2 shown]


/* local read b */

_ds_load_b64 v[vgprValuB_X1_I0+0:vgprValuB_X1_I0+0+1], v[vgprLocalReadAddrB] offset:0 // L -> Reg lro=0 swapByteOffset=0 ti=128 vIdx=0 rIdx=0 oIdx=0 buffer=1 iui=0


/* local read inc a */

s_mov_b32 s10, 0xa00                               // inc
_v_add_co_u32 v[vgprLocalReadAddrA], vcc, s10, v[vgprLocalReadAddrA] // lrA += 2560 (LSU*(MT+PAD)*bpe)


/* local read inc b */

s_mov_b32 s10, 0x10                                // inc
_v_add_co_u32 v[vgprLocalReadAddrB], vcc, s10, v[vgprLocalReadAddrB] // lrB += 16 (LSU*bpe)

s_waitcnt lgkmcnt(0)                               // lgkmcnt=0 vmcnt=-14wait for local read

v_or_b32 v[vgprValuA_X1_I0+0], v[vgprValuA_X1_I0+0], v84 // pack two half Vgpr to one Vgpr
v_or_b32 v[vgprValuA_X1_I0+1], v[vgprValuA_X1_I0+1], v85 // pack two half Vgpr to one Vgpr
	;; [unrolled: 1-line block ×10, first 2 shown]


/* tail loop mfma iter 1: numReadsIterCoalescedA=1, numReadsIterCoalescedB=1 */
v_and_b32 v84, 63, v[vgprSerial]                   // v84 = v[vgprSerial] % 64
v_lshrrev_b32 v84, 5, v84                          // v84 = v84 / 32
v_lshlrev_b32 v84, 0x2, v84                        // v84 = v84 * 4
v_cmp_ge_i32 s[64:65], v84, s[sgprLoopCounterL]    // check K index >= Size L
v_cndmask_b32 v[vgprValuB_X1_I0+0+0+0+0], v[vgprValuB_X1_I0+0+0+0+0], 0x0, s[64:65] // set 0 if K_idx >= sizeL
v_cndmask_b32 v[vgprValuB_X1_I0+0+0+0+1], v[vgprValuB_X1_I0+0+0+0+1], 0x0, s[64:65] // set 0 if K_idx >= sizeL
_v_sub_u32 v84, s[sgprLoopCounterL], v84           // get distance between size and k index
v_cmp_lt_i32 s[64:65], v84, 4                      // set partial 0 if distance less than input per thread
s_and_b32 s66, s[sgprLoopCounterL], 3              // get inputs for edge thread
s_sub_u32 s66, 4, s66                              // use shift to fill 0 for outside element
s_lshl_b32 s66, s66, 4                             // use shift to fill 0 for outside element
v_mov_b32 v86, -1                                  // set 0xffffffff
v_mov_b32 v87, -1                                  // set 0xffffffff
v_lshrrev_b64 v[86:87], s66, v[86:87]              // rshift mask for partial k
v_cndmask_b32 v86, -1, v86, s[64:65]               // select shifted mask for partial k
v_cndmask_b32 v87, -1, v87, s[64:65]               // select shifted mask for partial k
v_and_b32 v[vgprValuB_X1_I0+0+0+0+0], v[vgprValuB_X1_I0+0+0+0+0], v86 // 
v_and_b32 v[vgprValuB_X1_I0+0+0+0+1], v[vgprValuB_X1_I0+0+0+0+1], v87 // 
s_nop 1
v_mfma_f32_32x32x8bf16_1k a[0+0:15+0], v[vgprValuB_X1_I0+0+0+0:vgprValuB_X1_I0+0+0+0+1], v[vgprValuA_X1_I0+0+0+0:vgprValuA_X1_I0+0+0+0+1], a[0:15]
v_mfma_f32_32x32x8bf16_1k a[16+0:31+0], v[vgprValuB_X1_I0+0+0+0:vgprValuB_X1_I0+0+0+0+1], v[vgprValuA_X1_I0+2+0+0:vgprValuA_X1_I0+2+0+0+1], a[16:31]
v_mfma_f32_32x32x8bf16_1k a[32+0:47+0], v[vgprValuB_X1_I0+0+0+0:vgprValuB_X1_I0+0+0+0+1], v[vgprValuA_X1_I0+4+0+0:vgprValuA_X1_I0+4+0+0+1], a[32:47]
v_mfma_f32_32x32x8bf16_1k a[48+0:63+0], v[vgprValuB_X1_I0+0+0+0:vgprValuB_X1_I0+0+0+0+1], v[vgprValuA_X1_I0+6+0+0:vgprValuA_X1_I0+6+0+0+1], a[48:63]
v_mfma_f32_32x32x8bf16_1k a[64+0:79+0], v[vgprValuB_X1_I0+0+0+0:vgprValuB_X1_I0+0+0+0+1], v[vgprValuA_X1_I0+8+0+0:vgprValuA_X1_I0+8+0+0+1], a[64:79]


/* closeLoop loopL finalLoop=0 tailLoop=1 */
s_sub_i32 s[sgprLoopCounterL], s[sgprLoopCounterL], 0x8 // dec counterL (tailLoop)
s_add_u32 s[sgprOrigLoopCounter], s[sgprOrigLoopCounter], 0x8 // inc counterL
s_cmp_le_i32 s[sgprLoopCounterL], 0x0              // counterL<=0
s_cbranch_scc1 TailLoopEndL_7                      // exit LoopL


/* tail loop unroll iter 2 */


/* local read a */

_ds_load_u16 v[vgprValuA_X2_I0+0], v[vgprLocalReadAddrA] offset:0 // L -> Reg lro=0 swapByteOffset=0 ti=32 vIdx=0 rIdx=0 oIdx=0 buffer=2 iui=0
_ds_load_u16_d16_hi v84, v[vgprLocalReadAddrA] offset:320 // L -> Reg lro=0 swapByteOffset=0 ti=32 vIdx=0 rIdx=1 oIdx=0 buffer=2 iui=0
_ds_load_u16 v[vgprValuA_X2_I0+1], v[vgprLocalReadAddrA] offset:640 // L -> Reg lro=0 swapByteOffset=0 ti=32 vIdx=0 rIdx=2 oIdx=0 buffer=2 iui=0
_ds_load_u16_d16_hi v85, v[vgprLocalReadAddrA] offset:960 // L -> Reg lro=0 swapByteOffset=0 ti=32 vIdx=0 rIdx=3 oIdx=0 buffer=2 iui=0
	;; [unrolled: 2-line block ×10, first 2 shown]


/* local read b */

_ds_load_b64 v[vgprValuB_X2_I0+0:vgprValuB_X2_I0+0+1], v[vgprLocalReadAddrB] offset:0 // L -> Reg lro=0 swapByteOffset=0 ti=128 vIdx=0 rIdx=0 oIdx=0 buffer=2 iui=0


/* local read inc a */

s_mov_b32 s10, 0xa00                               // inc
_v_add_co_u32 v[vgprLocalReadAddrA], vcc, s10, v[vgprLocalReadAddrA] // lrA += 2560 (LSU*(MT+PAD)*bpe)


/* local read inc b */

s_mov_b32 s10, 0x10                                // inc
_v_add_co_u32 v[vgprLocalReadAddrB], vcc, s10, v[vgprLocalReadAddrB] // lrB += 16 (LSU*bpe)

s_waitcnt lgkmcnt(0)                               // lgkmcnt=0 vmcnt=-14wait for local read

v_or_b32 v[vgprValuA_X2_I0+0], v[vgprValuA_X2_I0+0], v84 // pack two half Vgpr to one Vgpr
v_or_b32 v[vgprValuA_X2_I0+1], v[vgprValuA_X2_I0+1], v85 // pack two half Vgpr to one Vgpr
v_or_b32 v[vgprValuA_X2_I0+2], v[vgprValuA_X2_I0+2], v86 // pack two half Vgpr to one Vgpr
v_or_b32 v[vgprValuA_X2_I0+3], v[vgprValuA_X2_I0+3], v87 // pack two half Vgpr to one Vgpr
v_or_b32 v[vgprValuA_X2_I0+4], v[vgprValuA_X2_I0+4], v88 // pack two half Vgpr to one Vgpr
v_or_b32 v[vgprValuA_X2_I0+5], v[vgprValuA_X2_I0+5], v89 // pack two half Vgpr to one Vgpr
v_or_b32 v[vgprValuA_X2_I0+6], v[vgprValuA_X2_I0+6], v90 // pack two half Vgpr to one Vgpr
v_or_b32 v[vgprValuA_X2_I0+7], v[vgprValuA_X2_I0+7], v91 // pack two half Vgpr to one Vgpr
v_or_b32 v[vgprValuA_X2_I0+8], v[vgprValuA_X2_I0+8], v92 // pack two half Vgpr to one Vgpr
v_or_b32 v[vgprValuA_X2_I0+9], v[vgprValuA_X2_I0+9], v93 // pack two half Vgpr to one Vgpr


/* tail loop mfma iter 2: numReadsIterCoalescedA=1, numReadsIterCoalescedB=1 */
v_and_b32 v84, 63, v[vgprSerial]                   // v84 = v[vgprSerial] % 64
v_lshrrev_b32 v84, 5, v84                          // v84 = v84 / 32
v_lshlrev_b32 v84, 0x2, v84                        // v84 = v84 * 4
v_cmp_ge_i32 s[64:65], v84, s[sgprLoopCounterL]    // check K index >= Size L
v_cndmask_b32 v[vgprValuB_X2_I0+0+0+0+0], v[vgprValuB_X2_I0+0+0+0+0], 0x0, s[64:65] // set 0 if K_idx >= sizeL
v_cndmask_b32 v[vgprValuB_X2_I0+0+0+0+1], v[vgprValuB_X2_I0+0+0+0+1], 0x0, s[64:65] // set 0 if K_idx >= sizeL
_v_sub_u32 v84, s[sgprLoopCounterL], v84           // get distance between size and k index
v_cmp_lt_i32 s[64:65], v84, 4                      // set partial 0 if distance less than input per thread
s_and_b32 s66, s[sgprLoopCounterL], 3              // get inputs for edge thread
s_sub_u32 s66, 4, s66                              // use shift to fill 0 for outside element
s_lshl_b32 s66, s66, 4                             // use shift to fill 0 for outside element
v_mov_b32 v86, -1                                  // set 0xffffffff
v_mov_b32 v87, -1                                  // set 0xffffffff
v_lshrrev_b64 v[86:87], s66, v[86:87]              // rshift mask for partial k
v_cndmask_b32 v86, -1, v86, s[64:65]               // select shifted mask for partial k
v_cndmask_b32 v87, -1, v87, s[64:65]               // select shifted mask for partial k
v_and_b32 v[vgprValuB_X2_I0+0+0+0+0], v[vgprValuB_X2_I0+0+0+0+0], v86 // 
v_and_b32 v[vgprValuB_X2_I0+0+0+0+1], v[vgprValuB_X2_I0+0+0+0+1], v87 // 
s_nop 1
v_mfma_f32_32x32x8bf16_1k a[0+0:15+0], v[vgprValuB_X2_I0+0+0+0:vgprValuB_X2_I0+0+0+0+1], v[vgprValuA_X2_I0+0+0+0:vgprValuA_X2_I0+0+0+0+1], a[0:15]
v_mfma_f32_32x32x8bf16_1k a[16+0:31+0], v[vgprValuB_X2_I0+0+0+0:vgprValuB_X2_I0+0+0+0+1], v[vgprValuA_X2_I0+2+0+0:vgprValuA_X2_I0+2+0+0+1], a[16:31]
	;; [unrolled: 1-line block ×5, first 2 shown]


/* closeLoop loopL finalLoop=0 tailLoop=1 */
s_sub_i32 s[sgprLoopCounterL], s[sgprLoopCounterL], 0x8 // dec counterL (tailLoop)
s_add_u32 s[sgprOrigLoopCounter], s[sgprOrigLoopCounter], 0x8 // inc counterL
s_cmp_le_i32 s[sgprLoopCounterL], 0x0              // counterL<=0
s_cbranch_scc1 TailLoopEndL_7                      // exit LoopL


/* tail loop unroll iter 3 */


/* local read a */

_ds_load_u16 v[vgprValuA_X3_I0+0], v[vgprLocalReadAddrA] offset:0 // L -> Reg lro=0 swapByteOffset=0 ti=32 vIdx=0 rIdx=0 oIdx=0 buffer=3 iui=0
_ds_load_u16_d16_hi v84, v[vgprLocalReadAddrA] offset:320 // L -> Reg lro=0 swapByteOffset=0 ti=32 vIdx=0 rIdx=1 oIdx=0 buffer=3 iui=0
_ds_load_u16 v[vgprValuA_X3_I0+1], v[vgprLocalReadAddrA] offset:640 // L -> Reg lro=0 swapByteOffset=0 ti=32 vIdx=0 rIdx=2 oIdx=0 buffer=3 iui=0
_ds_load_u16_d16_hi v85, v[vgprLocalReadAddrA] offset:960 // L -> Reg lro=0 swapByteOffset=0 ti=32 vIdx=0 rIdx=3 oIdx=0 buffer=3 iui=0
	;; [unrolled: 2-line block ×10, first 2 shown]


/* local read b */

_ds_load_b64 v[vgprValuB_X3_I0+0:vgprValuB_X3_I0+0+1], v[vgprLocalReadAddrB] offset:0 // L -> Reg lro=0 swapByteOffset=0 ti=128 vIdx=0 rIdx=0 oIdx=0 buffer=3 iui=0


/* local read inc a */

s_mov_b32 s10, 0xa00                               // inc
_v_add_co_u32 v[vgprLocalReadAddrA], vcc, s10, v[vgprLocalReadAddrA] // lrA += 2560 (LSU*(MT+PAD)*bpe)


/* local read inc b */

s_mov_b32 s10, 0x10                                // inc
_v_add_co_u32 v[vgprLocalReadAddrB], vcc, s10, v[vgprLocalReadAddrB] // lrB += 16 (LSU*bpe)

s_waitcnt lgkmcnt(0)                               // lgkmcnt=0 vmcnt=-14wait for local read

v_or_b32 v[vgprValuA_X3_I0+0], v[vgprValuA_X3_I0+0], v84 // pack two half Vgpr to one Vgpr
v_or_b32 v[vgprValuA_X3_I0+1], v[vgprValuA_X3_I0+1], v85 // pack two half Vgpr to one Vgpr
	;; [unrolled: 1-line block ×10, first 2 shown]


/* tail loop mfma iter 3: numReadsIterCoalescedA=1, numReadsIterCoalescedB=1 */
v_and_b32 v84, 63, v[vgprSerial]                   // v84 = v[vgprSerial] % 64
v_lshrrev_b32 v84, 5, v84                          // v84 = v84 / 32
v_lshlrev_b32 v84, 0x2, v84                        // v84 = v84 * 4
v_cmp_ge_i32 s[64:65], v84, s[sgprLoopCounterL]    // check K index >= Size L
v_cndmask_b32 v[vgprValuB_X3_I0+0+0+0+0], v[vgprValuB_X3_I0+0+0+0+0], 0x0, s[64:65] // set 0 if K_idx >= sizeL
v_cndmask_b32 v[vgprValuB_X3_I0+0+0+0+1], v[vgprValuB_X3_I0+0+0+0+1], 0x0, s[64:65] // set 0 if K_idx >= sizeL
_v_sub_u32 v84, s[sgprLoopCounterL], v84           // get distance between size and k index
v_cmp_lt_i32 s[64:65], v84, 4                      // set partial 0 if distance less than input per thread
s_and_b32 s66, s[sgprLoopCounterL], 3              // get inputs for edge thread
s_sub_u32 s66, 4, s66                              // use shift to fill 0 for outside element
s_lshl_b32 s66, s66, 4                             // use shift to fill 0 for outside element
v_mov_b32 v86, -1                                  // set 0xffffffff
v_mov_b32 v87, -1                                  // set 0xffffffff
v_lshrrev_b64 v[86:87], s66, v[86:87]              // rshift mask for partial k
v_cndmask_b32 v86, -1, v86, s[64:65]               // select shifted mask for partial k
v_cndmask_b32 v87, -1, v87, s[64:65]               // select shifted mask for partial k
v_and_b32 v[vgprValuB_X3_I0+0+0+0+0], v[vgprValuB_X3_I0+0+0+0+0], v86 // 
v_and_b32 v[vgprValuB_X3_I0+0+0+0+1], v[vgprValuB_X3_I0+0+0+0+1], v87 // 
s_nop 1
v_mfma_f32_32x32x8bf16_1k a[0+0:15+0], v[vgprValuB_X3_I0+0+0+0:vgprValuB_X3_I0+0+0+0+1], v[vgprValuA_X3_I0+0+0+0:vgprValuA_X3_I0+0+0+0+1], a[0:15]
v_mfma_f32_32x32x8bf16_1k a[16+0:31+0], v[vgprValuB_X3_I0+0+0+0:vgprValuB_X3_I0+0+0+0+1], v[vgprValuA_X3_I0+2+0+0:vgprValuA_X3_I0+2+0+0+1], a[16:31]
	;; [unrolled: 1-line block ×5, first 2 shown]


/* closeLoop loopL finalLoop=1 tailLoop=1 */
s_sub_i32 s[sgprLoopCounterL], s[sgprLoopCounterL], 0x8 // dec counterL (tailLoop)
s_add_u32 s[sgprOrigLoopCounter], s[sgprOrigLoopCounter], 0x8 // inc counterL
s_cmp_le_i32 s[sgprLoopCounterL], 0x0              // counterL<=0
s_cbranch_scc0 TailLoopBeginL_6                    // restart LoopL
TailLoopEndL_7:

SkipTailLoopL_8:

Summation_End_18:
/* endSummation: add vgpr [0...78) to pool */
.set NumFullBlocks, UNDEF
.set WgmRemainder1, UNDEF
.set MagicNumberWgmRemainder1, UNDEF
.set Fp16AltOffset, UNDEF
.set Fp16AltNanCheck, UNDEF

/* Mapping of Acc register -> C Vgpr register */


/* shift vector components d0 */

v_mov_b32 v1, s[sgprWorkGroup0]                    // 
v_mul_i32_i24 v1, -0xa0, v1                        // wg*MT
_v_add_co_u32 v1, vcc, s[sgprSizesFree+0], v1      // wgMT = Size - wg*MT
v_mov_b32 v2, 0xa0                                 // MT
v_min_u32 v1, v2, v1                               // wgMT = (wgMT < MT) ? wgMT : MT
v_lshrrev_b32 v0, 6, v[vgprSerial]                 // v0 = v[vgprSerial] / 64
v_and_b32 v3, 0, v0                                // v3 = v0 % 1
v_lshrrev_b32 v0, 5, v1                            // v0 = v1 / 32
v_and_b32 v4, 0, v0                                // v4 = v0 % 1
v_cmp_eq_u32 s[10:11], v4, v3                      // wave_id == block_belong_to_wave?
v_cndmask_b32 v1, v2, v1, s[10:11]                 // wgMT = (wgMT < MT) ? wgMT : MT

/* mbReg: which mb block need to shift, mb(matrixInstCoal(32) * VectorWidth(1)) */
v_lshrrev_b32 v2, 5, v1                            // v2 = v1 / 32
v_lshlrev_b32 v4, 0x0, v3                          // v4 = v3 * 1
_v_sub_u32 v2, v2, v4                              // 

/* gbReg: glvw block id */
v_lshrrev_b32 v4, 2, v1                            // v4 = v1 / 4

/* tgbReg: glvw block id */
v_lshrrev_b32 v0, 0, v[vgprSerial]                 // v0 = v[vgprSerial] / 1
v_and_b32 v5, 31, v0                               // v5 = v0 % 32
                                                   // v5 = v5 * 1 (multiplier is 1, do nothing)
v_lshrrev_b32 v5, 2, v5                            // v5 = v5 / 4
v_lshlrev_b32 v3, 0x3, v3                          // v3 = v3 * 8
_v_add_co_u32 v5, vcc, v3, v5                      // tgbReg = (tid_coal * continOut) / GLVW
_v_sub_u32 v4, v4, v5                              // 

/* vwReg: glvw in which vw block? */
v_and_b32 v3, 0, v1                                // permute register between threads
v_lshrrev_b32 v3, 2, v3                            // permute register between threads

/* rReg : reminder of M_size % GlobalLoadVectorWidth */
v_and_b32 v5, 3, v1                                // v5 = v1 % 4
v_cmp_eq_u32 vcc, v5, 0x1                          // wgMT%VW == 1
s_cbranch_vccnz label_0019                         // branch to shift d0 r=1
v_cmp_eq_u32 vcc, v5, 0x2                          // wgMT%VW == 2
s_cbranch_vccnz label_0030                         // branch to shift d0 r=2
v_cmp_eq_u32 vcc, v5, 0x3                          // wgMT%VW == 3
s_cbranch_vccnz label_0041                         // branch to shift d0 r=3
s_branch label_0052                                // no shifting

/******************************************/
/* shift d0 r=1                           */
/******************************************/
label_0019:
v_cmp_eq_u32 vcc, v2, 0x0                          // 
s_cbranch_vccnz label_0020                         // branch to shift d0 r1 mb0
v_cmp_eq_u32 vcc, v2, 0x1                          // 
s_cbranch_vccnz label_0022                         // branch to shift d0 r1 mb1
v_cmp_eq_u32 vcc, v2, 0x2                          // 
s_cbranch_vccnz label_0024                         // branch to shift d0 r1 mb2
v_cmp_eq_u32 vcc, v2, 0x3                          // 
s_cbranch_vccnz label_0026                         // branch to shift d0 r1 mb3
v_cmp_eq_u32 vcc, v2, 0x4                          // 
s_cbranch_vccnz label_0028                         // branch to shift d0 r1 mb4

/******************************************/
/* shift d0 r=2                           */
/******************************************/
label_0030:
v_cmp_eq_u32 vcc, v2, 0x0                          // 
s_cbranch_vccnz label_0031                         // branch to shift d0 r2 mb0
v_cmp_eq_u32 vcc, v2, 0x1                          // 
s_cbranch_vccnz label_0033                         // branch to shift d0 r2 mb1
v_cmp_eq_u32 vcc, v2, 0x2                          // 
s_cbranch_vccnz label_0035                         // branch to shift d0 r2 mb2
v_cmp_eq_u32 vcc, v2, 0x3                          // 
s_cbranch_vccnz label_0037                         // branch to shift d0 r2 mb3
v_cmp_eq_u32 vcc, v2, 0x4                          // 
s_cbranch_vccnz label_0039                         // branch to shift d0 r2 mb4

/******************************************/
/* shift d0 r=3                           */
/******************************************/
label_0041:
v_cmp_eq_u32 vcc, v2, 0x0                          // 
s_cbranch_vccnz label_0042                         // branch to shift d0 r3 mb0
v_cmp_eq_u32 vcc, v2, 0x1                          // 
s_cbranch_vccnz label_0044                         // branch to shift d0 r3 mb1
v_cmp_eq_u32 vcc, v2, 0x2                          // 
s_cbranch_vccnz label_0046                         // branch to shift d0 r3 mb2
v_cmp_eq_u32 vcc, v2, 0x3                          // 
s_cbranch_vccnz label_0048                         // branch to shift d0 r3 mb3
v_cmp_eq_u32 vcc, v2, 0x4                          // 
s_cbranch_vccnz label_0050                         // branch to shift d0 r3 mb4

/******************************************/
/* shift d0 r=1 mb=0                      */
/******************************************/
label_0020: // r1 mb0 
v_cmp_eq_u32 vcc, v3, 0x0                          // 
s_cbranch_vccnz label_0021                         // branch to shift d0 r1 mb0 vw0

/******************************************/
/* shift d0 r=1 mb=1                      */
/******************************************/
label_0022: // r1 mb1 
v_cmp_eq_u32 vcc, v3, 0x0                          // 
s_cbranch_vccnz label_0023                         // branch to shift d0 r1 mb1 vw0

/******************************************/
/* shift d0 r=1 mb=2                      */
/******************************************/
label_0024: // r1 mb2 
v_cmp_eq_u32 vcc, v3, 0x0                          // 
s_cbranch_vccnz label_0025                         // branch to shift d0 r1 mb2 vw0

/******************************************/
/* shift d0 r=1 mb=3                      */
/******************************************/
label_0026: // r1 mb3 
v_cmp_eq_u32 vcc, v3, 0x0                          // 
s_cbranch_vccnz label_0027                         // branch to shift d0 r1 mb3 vw0

/******************************************/
/* shift d0 r=1 mb=4                      */
/******************************************/
label_0028: // r1 mb4 
v_cmp_eq_u32 vcc, v3, 0x0                          // 
s_cbranch_vccnz label_0029                         // branch to shift d0 r1 mb4 vw0

/******************************************/
/* shift d0 r=2 mb=0                      */
/******************************************/
label_0031: // r2 mb0 
v_cmp_eq_u32 vcc, v3, 0x0                          // 
s_cbranch_vccnz label_0032                         // branch to shift d0 r2 mb0 vw0

/******************************************/
/* shift d0 r=2 mb=1                      */
/******************************************/
label_0033: // r2 mb1 
v_cmp_eq_u32 vcc, v3, 0x0                          // 
s_cbranch_vccnz label_0034                         // branch to shift d0 r2 mb1 vw0

/******************************************/
/* shift d0 r=2 mb=2                      */
/******************************************/
label_0035: // r2 mb2 
v_cmp_eq_u32 vcc, v3, 0x0                          // 
s_cbranch_vccnz label_0036                         // branch to shift d0 r2 mb2 vw0

/******************************************/
/* shift d0 r=2 mb=3                      */
/******************************************/
label_0037: // r2 mb3 
v_cmp_eq_u32 vcc, v3, 0x0                          // 
s_cbranch_vccnz label_0038                         // branch to shift d0 r2 mb3 vw0

/******************************************/
/* shift d0 r=2 mb=4                      */
/******************************************/
label_0039: // r2 mb4 
v_cmp_eq_u32 vcc, v3, 0x0                          // 
s_cbranch_vccnz label_0040                         // branch to shift d0 r2 mb4 vw0

/******************************************/
/* shift d0 r=3 mb=0                      */
/******************************************/
label_0042: // r3 mb0 
v_cmp_eq_u32 vcc, v3, 0x0                          // 
s_cbranch_vccnz label_0043                         // branch to shift d0 r3 mb0 vw0

/******************************************/
/* shift d0 r=3 mb=1                      */
/******************************************/
label_0044: // r3 mb1 
v_cmp_eq_u32 vcc, v3, 0x0                          // 
s_cbranch_vccnz label_0045                         // branch to shift d0 r3 mb1 vw0

/******************************************/
/* shift d0 r=3 mb=2                      */
/******************************************/
label_0046: // r3 mb2 
v_cmp_eq_u32 vcc, v3, 0x0                          // 
s_cbranch_vccnz label_0047                         // branch to shift d0 r3 mb2 vw0

/******************************************/
/* shift d0 r=3 mb=3                      */
/******************************************/
label_0048: // r3 mb3 
v_cmp_eq_u32 vcc, v3, 0x0                          // 
s_cbranch_vccnz label_0049                         // branch to shift d0 r3 mb3 vw0

/******************************************/
/* shift d0 r=3 mb=4                      */
/******************************************/
label_0050: // r3 mb4 
v_cmp_eq_u32 vcc, v3, 0x0                          // 
s_cbranch_vccnz label_0051                         // branch to shift d0 r3 mb4 vw0

/******************************************/
/* shift d0 r=1 mb=0 vw0                  */
/******************************************/
label_0021: // r1 mb0 vw0 
s_mov_b32 s10, 0                                   // 
_v_cmpx_eq_u32 s[10:11], v4, s10                   // is thread in edge glvw region
v_and_b32 v0, 63, v[vgprSerial]                    // permute register between threads
v_lshlrev_b32 v0, 2, v0                            // permute register between threads
v_accvgpr_read_b32 v5, acc0                        // glvw 1 mb 0 tt1 0 r 0
s_nop 1                                            // v_accvgpr read vgpr after write vgpr: 2 wait states
ds_bpermute_b32 v5, v0, v5, offset:12              // permute edge values
s_waitcnt 0                                        // wait for swizzle operation
v_accvgpr_write_b32 acc0, v5                       // 
v_accvgpr_read_b32 v5, acc1                        // glvw 1 mb 0 tt1 1 r 0
s_nop 1                                            // v_accvgpr read vgpr after write vgpr: 2 wait states
ds_bpermute_b32 v5, v0, v5, offset:12              // permute edge values
s_waitcnt 0                                        // wait for swizzle operation
v_accvgpr_write_b32 acc1, v5                       // 
v_accvgpr_read_b32 v5, acc2                        // glvw 1 mb 0 tt1 2 r 0
s_nop 1                                            // v_accvgpr read vgpr after write vgpr: 2 wait states
ds_bpermute_b32 v5, v0, v5, offset:12              // permute edge values
s_waitcnt 0                                        // wait for swizzle operation
v_accvgpr_write_b32 acc2, v5                       // 
v_accvgpr_read_b32 v5, acc3                        // glvw 1 mb 0 tt1 3 r 0
s_nop 1                                            // v_accvgpr read vgpr after write vgpr: 2 wait states
ds_bpermute_b32 v5, v0, v5, offset:12              // permute edge values
s_waitcnt 0                                        // wait for swizzle operation
v_accvgpr_write_b32 acc3, v5                       // 
v_accvgpr_read_b32 v5, acc4                        // glvw 1 mb 0 tt1 4 r 0
s_nop 1                                            // v_accvgpr read vgpr after write vgpr: 2 wait states
ds_bpermute_b32 v5, v0, v5, offset:12              // permute edge values
s_waitcnt 0                                        // wait for swizzle operation
v_accvgpr_write_b32 acc4, v5                       // 
v_accvgpr_read_b32 v5, acc5                        // glvw 1 mb 0 tt1 5 r 0
s_nop 1                                            // v_accvgpr read vgpr after write vgpr: 2 wait states
ds_bpermute_b32 v5, v0, v5, offset:12              // permute edge values
s_waitcnt 0                                        // wait for swizzle operation
v_accvgpr_write_b32 acc5, v5                       // 
v_accvgpr_read_b32 v5, acc6                        // glvw 1 mb 0 tt1 6 r 0
s_nop 1                                            // v_accvgpr read vgpr after write vgpr: 2 wait states
ds_bpermute_b32 v5, v0, v5, offset:12              // permute edge values
s_waitcnt 0                                        // wait for swizzle operation
v_accvgpr_write_b32 acc6, v5                       // 
v_accvgpr_read_b32 v5, acc7                        // glvw 1 mb 0 tt1 7 r 0
s_nop 1                                            // v_accvgpr read vgpr after write vgpr: 2 wait states
ds_bpermute_b32 v5, v0, v5, offset:12              // permute edge values
s_waitcnt 0                                        // wait for swizzle operation
v_accvgpr_write_b32 acc7, v5                       // 
v_accvgpr_read_b32 v5, acc8                        // glvw 1 mb 0 tt1 8 r 0
s_nop 1                                            // v_accvgpr read vgpr after write vgpr: 2 wait states
ds_bpermute_b32 v5, v0, v5, offset:12              // permute edge values
s_waitcnt 0                                        // wait for swizzle operation
v_accvgpr_write_b32 acc8, v5                       // 
v_accvgpr_read_b32 v5, acc9                        // glvw 1 mb 0 tt1 9 r 0
s_nop 1                                            // v_accvgpr read vgpr after write vgpr: 2 wait states
ds_bpermute_b32 v5, v0, v5, offset:12              // permute edge values
s_waitcnt 0                                        // wait for swizzle operation
v_accvgpr_write_b32 acc9, v5                       // 
v_accvgpr_read_b32 v5, acc10                       // glvw 1 mb 0 tt1 10 r 0
s_nop 1                                            // v_accvgpr read vgpr after write vgpr: 2 wait states
ds_bpermute_b32 v5, v0, v5, offset:12              // permute edge values
s_waitcnt 0                                        // wait for swizzle operation
v_accvgpr_write_b32 acc10, v5                      // 
v_accvgpr_read_b32 v5, acc11                       // glvw 1 mb 0 tt1 11 r 0
s_nop 1                                            // v_accvgpr read vgpr after write vgpr: 2 wait states
ds_bpermute_b32 v5, v0, v5, offset:12              // permute edge values
s_waitcnt 0                                        // wait for swizzle operation
v_accvgpr_write_b32 acc11, v5                      // 
v_accvgpr_read_b32 v5, acc12                       // glvw 1 mb 0 tt1 12 r 0
s_nop 1                                            // v_accvgpr read vgpr after write vgpr: 2 wait states
ds_bpermute_b32 v5, v0, v5, offset:12              // permute edge values
s_waitcnt 0                                        // wait for swizzle operation
v_accvgpr_write_b32 acc12, v5                      // 
v_accvgpr_read_b32 v5, acc13                       // glvw 1 mb 0 tt1 13 r 0
s_nop 1                                            // v_accvgpr read vgpr after write vgpr: 2 wait states
ds_bpermute_b32 v5, v0, v5, offset:12              // permute edge values
s_waitcnt 0                                        // wait for swizzle operation
v_accvgpr_write_b32 acc13, v5                      // 
v_accvgpr_read_b32 v5, acc14                       // glvw 1 mb 0 tt1 14 r 0
s_nop 1                                            // v_accvgpr read vgpr after write vgpr: 2 wait states
ds_bpermute_b32 v5, v0, v5, offset:12              // permute edge values
s_waitcnt 0                                        // wait for swizzle operation
v_accvgpr_write_b32 acc14, v5                      // 
v_accvgpr_read_b32 v5, acc15                       // glvw 1 mb 0 tt1 15 r 0
s_nop 1                                            // v_accvgpr read vgpr after write vgpr: 2 wait states
ds_bpermute_b32 v5, v0, v5, offset:12              // permute edge values
s_waitcnt 0                                        // wait for swizzle operation
v_accvgpr_write_b32 acc15, v5                      // 
s_mov_b64 s[10:11], 0xFFFFFFFFFFFFFFFF             // to restore all threads active
s_or_saveexec_b64 vcc, s[10:11]                    // all threads active
s_branch label_0052                                // done shifting


/******************************************/
/* shift d0 r=1 mb=1 vw0                  */
/******************************************/
label_0023: // r1 mb1 vw0 
s_mov_b32 s10, 8                                   // 
_v_cmpx_eq_u32 s[10:11], v4, s10                   // is thread in edge glvw region
v_and_b32 v0, 63, v[vgprSerial]                    // permute register between threads
v_lshlrev_b32 v0, 2, v0                            // permute register between threads
v_accvgpr_read_b32 v5, acc16                       // glvw 1 mb 1 tt1 0 r 0
s_nop 1                                            // v_accvgpr read vgpr after write vgpr: 2 wait states
ds_bpermute_b32 v5, v0, v5, offset:12              // permute edge values
s_waitcnt 0                                        // wait for swizzle operation
v_accvgpr_write_b32 acc16, v5                      // 
v_accvgpr_read_b32 v5, acc17                       // glvw 1 mb 1 tt1 1 r 0
s_nop 1                                            // v_accvgpr read vgpr after write vgpr: 2 wait states
ds_bpermute_b32 v5, v0, v5, offset:12              // permute edge values
s_waitcnt 0                                        // wait for swizzle operation
v_accvgpr_write_b32 acc17, v5                      // 
v_accvgpr_read_b32 v5, acc18                       // glvw 1 mb 1 tt1 2 r 0
s_nop 1                                            // v_accvgpr read vgpr after write vgpr: 2 wait states
ds_bpermute_b32 v5, v0, v5, offset:12              // permute edge values
s_waitcnt 0                                        // wait for swizzle operation
v_accvgpr_write_b32 acc18, v5                      // 
v_accvgpr_read_b32 v5, acc19                       // glvw 1 mb 1 tt1 3 r 0
s_nop 1                                            // v_accvgpr read vgpr after write vgpr: 2 wait states
ds_bpermute_b32 v5, v0, v5, offset:12              // permute edge values
s_waitcnt 0                                        // wait for swizzle operation
v_accvgpr_write_b32 acc19, v5                      // 
v_accvgpr_read_b32 v5, acc20                       // glvw 1 mb 1 tt1 4 r 0
s_nop 1                                            // v_accvgpr read vgpr after write vgpr: 2 wait states
ds_bpermute_b32 v5, v0, v5, offset:12              // permute edge values
s_waitcnt 0                                        // wait for swizzle operation
v_accvgpr_write_b32 acc20, v5                      // 
v_accvgpr_read_b32 v5, acc21                       // glvw 1 mb 1 tt1 5 r 0
s_nop 1                                            // v_accvgpr read vgpr after write vgpr: 2 wait states
ds_bpermute_b32 v5, v0, v5, offset:12              // permute edge values
s_waitcnt 0                                        // wait for swizzle operation
v_accvgpr_write_b32 acc21, v5                      // 
v_accvgpr_read_b32 v5, acc22                       // glvw 1 mb 1 tt1 6 r 0
s_nop 1                                            // v_accvgpr read vgpr after write vgpr: 2 wait states
ds_bpermute_b32 v5, v0, v5, offset:12              // permute edge values
s_waitcnt 0                                        // wait for swizzle operation
v_accvgpr_write_b32 acc22, v5                      // 
v_accvgpr_read_b32 v5, acc23                       // glvw 1 mb 1 tt1 7 r 0
s_nop 1                                            // v_accvgpr read vgpr after write vgpr: 2 wait states
ds_bpermute_b32 v5, v0, v5, offset:12              // permute edge values
s_waitcnt 0                                        // wait for swizzle operation
v_accvgpr_write_b32 acc23, v5                      // 
v_accvgpr_read_b32 v5, acc24                       // glvw 1 mb 1 tt1 8 r 0
s_nop 1                                            // v_accvgpr read vgpr after write vgpr: 2 wait states
ds_bpermute_b32 v5, v0, v5, offset:12              // permute edge values
s_waitcnt 0                                        // wait for swizzle operation
v_accvgpr_write_b32 acc24, v5                      // 
v_accvgpr_read_b32 v5, acc25                       // glvw 1 mb 1 tt1 9 r 0
s_nop 1                                            // v_accvgpr read vgpr after write vgpr: 2 wait states
ds_bpermute_b32 v5, v0, v5, offset:12              // permute edge values
s_waitcnt 0                                        // wait for swizzle operation
v_accvgpr_write_b32 acc25, v5                      // 
v_accvgpr_read_b32 v5, acc26                       // glvw 1 mb 1 tt1 10 r 0
s_nop 1                                            // v_accvgpr read vgpr after write vgpr: 2 wait states
ds_bpermute_b32 v5, v0, v5, offset:12              // permute edge values
s_waitcnt 0                                        // wait for swizzle operation
v_accvgpr_write_b32 acc26, v5                      // 
v_accvgpr_read_b32 v5, acc27                       // glvw 1 mb 1 tt1 11 r 0
s_nop 1                                            // v_accvgpr read vgpr after write vgpr: 2 wait states
ds_bpermute_b32 v5, v0, v5, offset:12              // permute edge values
s_waitcnt 0                                        // wait for swizzle operation
v_accvgpr_write_b32 acc27, v5                      // 
v_accvgpr_read_b32 v5, acc28                       // glvw 1 mb 1 tt1 12 r 0
s_nop 1                                            // v_accvgpr read vgpr after write vgpr: 2 wait states
ds_bpermute_b32 v5, v0, v5, offset:12              // permute edge values
s_waitcnt 0                                        // wait for swizzle operation
v_accvgpr_write_b32 acc28, v5                      // 
v_accvgpr_read_b32 v5, acc29                       // glvw 1 mb 1 tt1 13 r 0
s_nop 1                                            // v_accvgpr read vgpr after write vgpr: 2 wait states
ds_bpermute_b32 v5, v0, v5, offset:12              // permute edge values
s_waitcnt 0                                        // wait for swizzle operation
v_accvgpr_write_b32 acc29, v5                      // 
v_accvgpr_read_b32 v5, acc30                       // glvw 1 mb 1 tt1 14 r 0
s_nop 1                                            // v_accvgpr read vgpr after write vgpr: 2 wait states
ds_bpermute_b32 v5, v0, v5, offset:12              // permute edge values
s_waitcnt 0                                        // wait for swizzle operation
v_accvgpr_write_b32 acc30, v5                      // 
v_accvgpr_read_b32 v5, acc31                       // glvw 1 mb 1 tt1 15 r 0
s_nop 1                                            // v_accvgpr read vgpr after write vgpr: 2 wait states
ds_bpermute_b32 v5, v0, v5, offset:12              // permute edge values
s_waitcnt 0                                        // wait for swizzle operation
v_accvgpr_write_b32 acc31, v5                      // 
s_mov_b64 s[10:11], 0xFFFFFFFFFFFFFFFF             // to restore all threads active
s_or_saveexec_b64 vcc, s[10:11]                    // all threads active
s_branch label_0052                                // done shifting


/******************************************/
/* shift d0 r=1 mb=2 vw0                  */
/******************************************/
label_0025: // r1 mb2 vw0 
s_mov_b32 s10, 16                                  // 
_v_cmpx_eq_u32 s[10:11], v4, s10                   // is thread in edge glvw region
v_and_b32 v0, 63, v[vgprSerial]                    // permute register between threads
v_lshlrev_b32 v0, 2, v0                            // permute register between threads
v_accvgpr_read_b32 v5, acc32                       // glvw 1 mb 2 tt1 0 r 0
s_nop 1                                            // v_accvgpr read vgpr after write vgpr: 2 wait states
ds_bpermute_b32 v5, v0, v5, offset:12              // permute edge values
s_waitcnt 0                                        // wait for swizzle operation
v_accvgpr_write_b32 acc32, v5                      // 
v_accvgpr_read_b32 v5, acc33                       // glvw 1 mb 2 tt1 1 r 0
s_nop 1                                            // v_accvgpr read vgpr after write vgpr: 2 wait states
ds_bpermute_b32 v5, v0, v5, offset:12              // permute edge values
s_waitcnt 0                                        // wait for swizzle operation
v_accvgpr_write_b32 acc33, v5                      // 
v_accvgpr_read_b32 v5, acc34                       // glvw 1 mb 2 tt1 2 r 0
s_nop 1                                            // v_accvgpr read vgpr after write vgpr: 2 wait states
ds_bpermute_b32 v5, v0, v5, offset:12              // permute edge values
s_waitcnt 0                                        // wait for swizzle operation
v_accvgpr_write_b32 acc34, v5                      // 
v_accvgpr_read_b32 v5, acc35                       // glvw 1 mb 2 tt1 3 r 0
s_nop 1                                            // v_accvgpr read vgpr after write vgpr: 2 wait states
ds_bpermute_b32 v5, v0, v5, offset:12              // permute edge values
s_waitcnt 0                                        // wait for swizzle operation
v_accvgpr_write_b32 acc35, v5                      // 
v_accvgpr_read_b32 v5, acc36                       // glvw 1 mb 2 tt1 4 r 0
s_nop 1                                            // v_accvgpr read vgpr after write vgpr: 2 wait states
ds_bpermute_b32 v5, v0, v5, offset:12              // permute edge values
s_waitcnt 0                                        // wait for swizzle operation
v_accvgpr_write_b32 acc36, v5                      // 
v_accvgpr_read_b32 v5, acc37                       // glvw 1 mb 2 tt1 5 r 0
s_nop 1                                            // v_accvgpr read vgpr after write vgpr: 2 wait states
ds_bpermute_b32 v5, v0, v5, offset:12              // permute edge values
s_waitcnt 0                                        // wait for swizzle operation
v_accvgpr_write_b32 acc37, v5                      // 
v_accvgpr_read_b32 v5, acc38                       // glvw 1 mb 2 tt1 6 r 0
s_nop 1                                            // v_accvgpr read vgpr after write vgpr: 2 wait states
ds_bpermute_b32 v5, v0, v5, offset:12              // permute edge values
s_waitcnt 0                                        // wait for swizzle operation
v_accvgpr_write_b32 acc38, v5                      // 
v_accvgpr_read_b32 v5, acc39                       // glvw 1 mb 2 tt1 7 r 0
s_nop 1                                            // v_accvgpr read vgpr after write vgpr: 2 wait states
ds_bpermute_b32 v5, v0, v5, offset:12              // permute edge values
s_waitcnt 0                                        // wait for swizzle operation
v_accvgpr_write_b32 acc39, v5                      // 
v_accvgpr_read_b32 v5, acc40                       // glvw 1 mb 2 tt1 8 r 0
s_nop 1                                            // v_accvgpr read vgpr after write vgpr: 2 wait states
ds_bpermute_b32 v5, v0, v5, offset:12              // permute edge values
s_waitcnt 0                                        // wait for swizzle operation
v_accvgpr_write_b32 acc40, v5                      // 
v_accvgpr_read_b32 v5, acc41                       // glvw 1 mb 2 tt1 9 r 0
s_nop 1                                            // v_accvgpr read vgpr after write vgpr: 2 wait states
ds_bpermute_b32 v5, v0, v5, offset:12              // permute edge values
s_waitcnt 0                                        // wait for swizzle operation
v_accvgpr_write_b32 acc41, v5                      // 
v_accvgpr_read_b32 v5, acc42                       // glvw 1 mb 2 tt1 10 r 0
s_nop 1                                            // v_accvgpr read vgpr after write vgpr: 2 wait states
ds_bpermute_b32 v5, v0, v5, offset:12              // permute edge values
s_waitcnt 0                                        // wait for swizzle operation
v_accvgpr_write_b32 acc42, v5                      // 
v_accvgpr_read_b32 v5, acc43                       // glvw 1 mb 2 tt1 11 r 0
s_nop 1                                            // v_accvgpr read vgpr after write vgpr: 2 wait states
ds_bpermute_b32 v5, v0, v5, offset:12              // permute edge values
s_waitcnt 0                                        // wait for swizzle operation
v_accvgpr_write_b32 acc43, v5                      // 
v_accvgpr_read_b32 v5, acc44                       // glvw 1 mb 2 tt1 12 r 0
s_nop 1                                            // v_accvgpr read vgpr after write vgpr: 2 wait states
ds_bpermute_b32 v5, v0, v5, offset:12              // permute edge values
s_waitcnt 0                                        // wait for swizzle operation
v_accvgpr_write_b32 acc44, v5                      // 
v_accvgpr_read_b32 v5, acc45                       // glvw 1 mb 2 tt1 13 r 0
s_nop 1                                            // v_accvgpr read vgpr after write vgpr: 2 wait states
ds_bpermute_b32 v5, v0, v5, offset:12              // permute edge values
s_waitcnt 0                                        // wait for swizzle operation
v_accvgpr_write_b32 acc45, v5                      // 
v_accvgpr_read_b32 v5, acc46                       // glvw 1 mb 2 tt1 14 r 0
s_nop 1                                            // v_accvgpr read vgpr after write vgpr: 2 wait states
ds_bpermute_b32 v5, v0, v5, offset:12              // permute edge values
s_waitcnt 0                                        // wait for swizzle operation
v_accvgpr_write_b32 acc46, v5                      // 
v_accvgpr_read_b32 v5, acc47                       // glvw 1 mb 2 tt1 15 r 0
s_nop 1                                            // v_accvgpr read vgpr after write vgpr: 2 wait states
ds_bpermute_b32 v5, v0, v5, offset:12              // permute edge values
s_waitcnt 0                                        // wait for swizzle operation
v_accvgpr_write_b32 acc47, v5                      // 
s_mov_b64 s[10:11], 0xFFFFFFFFFFFFFFFF             // to restore all threads active
s_or_saveexec_b64 vcc, s[10:11]                    // all threads active
s_branch label_0052                                // done shifting


/******************************************/
/* shift d0 r=1 mb=3 vw0                  */
/******************************************/
label_0027: // r1 mb3 vw0 
s_mov_b32 s10, 24                                  // 
_v_cmpx_eq_u32 s[10:11], v4, s10                   // is thread in edge glvw region
v_and_b32 v0, 63, v[vgprSerial]                    // permute register between threads
v_lshlrev_b32 v0, 2, v0                            // permute register between threads
v_accvgpr_read_b32 v5, acc48                       // glvw 1 mb 3 tt1 0 r 0
s_nop 1                                            // v_accvgpr read vgpr after write vgpr: 2 wait states
ds_bpermute_b32 v5, v0, v5, offset:12              // permute edge values
s_waitcnt 0                                        // wait for swizzle operation
v_accvgpr_write_b32 acc48, v5                      // 
v_accvgpr_read_b32 v5, acc49                       // glvw 1 mb 3 tt1 1 r 0
s_nop 1                                            // v_accvgpr read vgpr after write vgpr: 2 wait states
ds_bpermute_b32 v5, v0, v5, offset:12              // permute edge values
s_waitcnt 0                                        // wait for swizzle operation
v_accvgpr_write_b32 acc49, v5                      // 
v_accvgpr_read_b32 v5, acc50                       // glvw 1 mb 3 tt1 2 r 0
s_nop 1                                            // v_accvgpr read vgpr after write vgpr: 2 wait states
ds_bpermute_b32 v5, v0, v5, offset:12              // permute edge values
s_waitcnt 0                                        // wait for swizzle operation
v_accvgpr_write_b32 acc50, v5                      // 
v_accvgpr_read_b32 v5, acc51                       // glvw 1 mb 3 tt1 3 r 0
s_nop 1                                            // v_accvgpr read vgpr after write vgpr: 2 wait states
ds_bpermute_b32 v5, v0, v5, offset:12              // permute edge values
s_waitcnt 0                                        // wait for swizzle operation
v_accvgpr_write_b32 acc51, v5                      // 
v_accvgpr_read_b32 v5, acc52                       // glvw 1 mb 3 tt1 4 r 0
s_nop 1                                            // v_accvgpr read vgpr after write vgpr: 2 wait states
ds_bpermute_b32 v5, v0, v5, offset:12              // permute edge values
s_waitcnt 0                                        // wait for swizzle operation
v_accvgpr_write_b32 acc52, v5                      // 
v_accvgpr_read_b32 v5, acc53                       // glvw 1 mb 3 tt1 5 r 0
s_nop 1                                            // v_accvgpr read vgpr after write vgpr: 2 wait states
ds_bpermute_b32 v5, v0, v5, offset:12              // permute edge values
s_waitcnt 0                                        // wait for swizzle operation
v_accvgpr_write_b32 acc53, v5                      // 
v_accvgpr_read_b32 v5, acc54                       // glvw 1 mb 3 tt1 6 r 0
s_nop 1                                            // v_accvgpr read vgpr after write vgpr: 2 wait states
ds_bpermute_b32 v5, v0, v5, offset:12              // permute edge values
s_waitcnt 0                                        // wait for swizzle operation
v_accvgpr_write_b32 acc54, v5                      // 
v_accvgpr_read_b32 v5, acc55                       // glvw 1 mb 3 tt1 7 r 0
s_nop 1                                            // v_accvgpr read vgpr after write vgpr: 2 wait states
ds_bpermute_b32 v5, v0, v5, offset:12              // permute edge values
s_waitcnt 0                                        // wait for swizzle operation
v_accvgpr_write_b32 acc55, v5                      // 
v_accvgpr_read_b32 v5, acc56                       // glvw 1 mb 3 tt1 8 r 0
s_nop 1                                            // v_accvgpr read vgpr after write vgpr: 2 wait states
ds_bpermute_b32 v5, v0, v5, offset:12              // permute edge values
s_waitcnt 0                                        // wait for swizzle operation
v_accvgpr_write_b32 acc56, v5                      // 
v_accvgpr_read_b32 v5, acc57                       // glvw 1 mb 3 tt1 9 r 0
s_nop 1                                            // v_accvgpr read vgpr after write vgpr: 2 wait states
ds_bpermute_b32 v5, v0, v5, offset:12              // permute edge values
s_waitcnt 0                                        // wait for swizzle operation
v_accvgpr_write_b32 acc57, v5                      // 
v_accvgpr_read_b32 v5, acc58                       // glvw 1 mb 3 tt1 10 r 0
s_nop 1                                            // v_accvgpr read vgpr after write vgpr: 2 wait states
ds_bpermute_b32 v5, v0, v5, offset:12              // permute edge values
s_waitcnt 0                                        // wait for swizzle operation
v_accvgpr_write_b32 acc58, v5                      // 
v_accvgpr_read_b32 v5, acc59                       // glvw 1 mb 3 tt1 11 r 0
s_nop 1                                            // v_accvgpr read vgpr after write vgpr: 2 wait states
ds_bpermute_b32 v5, v0, v5, offset:12              // permute edge values
s_waitcnt 0                                        // wait for swizzle operation
v_accvgpr_write_b32 acc59, v5                      // 
v_accvgpr_read_b32 v5, acc60                       // glvw 1 mb 3 tt1 12 r 0
s_nop 1                                            // v_accvgpr read vgpr after write vgpr: 2 wait states
ds_bpermute_b32 v5, v0, v5, offset:12              // permute edge values
s_waitcnt 0                                        // wait for swizzle operation
v_accvgpr_write_b32 acc60, v5                      // 
v_accvgpr_read_b32 v5, acc61                       // glvw 1 mb 3 tt1 13 r 0
s_nop 1                                            // v_accvgpr read vgpr after write vgpr: 2 wait states
ds_bpermute_b32 v5, v0, v5, offset:12              // permute edge values
s_waitcnt 0                                        // wait for swizzle operation
v_accvgpr_write_b32 acc61, v5                      // 
v_accvgpr_read_b32 v5, acc62                       // glvw 1 mb 3 tt1 14 r 0
s_nop 1                                            // v_accvgpr read vgpr after write vgpr: 2 wait states
ds_bpermute_b32 v5, v0, v5, offset:12              // permute edge values
s_waitcnt 0                                        // wait for swizzle operation
v_accvgpr_write_b32 acc62, v5                      // 
v_accvgpr_read_b32 v5, acc63                       // glvw 1 mb 3 tt1 15 r 0
s_nop 1                                            // v_accvgpr read vgpr after write vgpr: 2 wait states
ds_bpermute_b32 v5, v0, v5, offset:12              // permute edge values
s_waitcnt 0                                        // wait for swizzle operation
v_accvgpr_write_b32 acc63, v5                      // 
s_mov_b64 s[10:11], 0xFFFFFFFFFFFFFFFF             // to restore all threads active
s_or_saveexec_b64 vcc, s[10:11]                    // all threads active
s_branch label_0052                                // done shifting


/******************************************/
/* shift d0 r=1 mb=4 vw0                  */
/******************************************/
label_0029: // r1 mb4 vw0 
s_mov_b32 s10, 32                                  // 
_v_cmpx_eq_u32 s[10:11], v4, s10                   // is thread in edge glvw region
v_and_b32 v0, 63, v[vgprSerial]                    // permute register between threads
v_lshlrev_b32 v0, 2, v0                            // permute register between threads
v_accvgpr_read_b32 v5, acc64                       // glvw 1 mb 4 tt1 0 r 0
s_nop 1                                            // v_accvgpr read vgpr after write vgpr: 2 wait states
ds_bpermute_b32 v5, v0, v5, offset:12              // permute edge values
s_waitcnt 0                                        // wait for swizzle operation
v_accvgpr_write_b32 acc64, v5                      // 
v_accvgpr_read_b32 v5, acc65                       // glvw 1 mb 4 tt1 1 r 0
s_nop 1                                            // v_accvgpr read vgpr after write vgpr: 2 wait states
ds_bpermute_b32 v5, v0, v5, offset:12              // permute edge values
s_waitcnt 0                                        // wait for swizzle operation
v_accvgpr_write_b32 acc65, v5                      // 
v_accvgpr_read_b32 v5, acc66                       // glvw 1 mb 4 tt1 2 r 0
s_nop 1                                            // v_accvgpr read vgpr after write vgpr: 2 wait states
ds_bpermute_b32 v5, v0, v5, offset:12              // permute edge values
s_waitcnt 0                                        // wait for swizzle operation
v_accvgpr_write_b32 acc66, v5                      // 
v_accvgpr_read_b32 v5, acc67                       // glvw 1 mb 4 tt1 3 r 0
s_nop 1                                            // v_accvgpr read vgpr after write vgpr: 2 wait states
ds_bpermute_b32 v5, v0, v5, offset:12              // permute edge values
s_waitcnt 0                                        // wait for swizzle operation
v_accvgpr_write_b32 acc67, v5                      // 
v_accvgpr_read_b32 v5, acc68                       // glvw 1 mb 4 tt1 4 r 0
s_nop 1                                            // v_accvgpr read vgpr after write vgpr: 2 wait states
ds_bpermute_b32 v5, v0, v5, offset:12              // permute edge values
s_waitcnt 0                                        // wait for swizzle operation
v_accvgpr_write_b32 acc68, v5                      // 
v_accvgpr_read_b32 v5, acc69                       // glvw 1 mb 4 tt1 5 r 0
s_nop 1                                            // v_accvgpr read vgpr after write vgpr: 2 wait states
ds_bpermute_b32 v5, v0, v5, offset:12              // permute edge values
s_waitcnt 0                                        // wait for swizzle operation
v_accvgpr_write_b32 acc69, v5                      // 
v_accvgpr_read_b32 v5, acc70                       // glvw 1 mb 4 tt1 6 r 0
s_nop 1                                            // v_accvgpr read vgpr after write vgpr: 2 wait states
ds_bpermute_b32 v5, v0, v5, offset:12              // permute edge values
s_waitcnt 0                                        // wait for swizzle operation
v_accvgpr_write_b32 acc70, v5                      // 
v_accvgpr_read_b32 v5, acc71                       // glvw 1 mb 4 tt1 7 r 0
s_nop 1                                            // v_accvgpr read vgpr after write vgpr: 2 wait states
ds_bpermute_b32 v5, v0, v5, offset:12              // permute edge values
s_waitcnt 0                                        // wait for swizzle operation
v_accvgpr_write_b32 acc71, v5                      // 
v_accvgpr_read_b32 v5, acc72                       // glvw 1 mb 4 tt1 8 r 0
s_nop 1                                            // v_accvgpr read vgpr after write vgpr: 2 wait states
ds_bpermute_b32 v5, v0, v5, offset:12              // permute edge values
s_waitcnt 0                                        // wait for swizzle operation
v_accvgpr_write_b32 acc72, v5                      // 
v_accvgpr_read_b32 v5, acc73                       // glvw 1 mb 4 tt1 9 r 0
s_nop 1                                            // v_accvgpr read vgpr after write vgpr: 2 wait states
ds_bpermute_b32 v5, v0, v5, offset:12              // permute edge values
s_waitcnt 0                                        // wait for swizzle operation
v_accvgpr_write_b32 acc73, v5                      // 
v_accvgpr_read_b32 v5, acc74                       // glvw 1 mb 4 tt1 10 r 0
s_nop 1                                            // v_accvgpr read vgpr after write vgpr: 2 wait states
ds_bpermute_b32 v5, v0, v5, offset:12              // permute edge values
s_waitcnt 0                                        // wait for swizzle operation
v_accvgpr_write_b32 acc74, v5                      // 
v_accvgpr_read_b32 v5, acc75                       // glvw 1 mb 4 tt1 11 r 0
s_nop 1                                            // v_accvgpr read vgpr after write vgpr: 2 wait states
ds_bpermute_b32 v5, v0, v5, offset:12              // permute edge values
s_waitcnt 0                                        // wait for swizzle operation
v_accvgpr_write_b32 acc75, v5                      // 
v_accvgpr_read_b32 v5, acc76                       // glvw 1 mb 4 tt1 12 r 0
s_nop 1                                            // v_accvgpr read vgpr after write vgpr: 2 wait states
ds_bpermute_b32 v5, v0, v5, offset:12              // permute edge values
s_waitcnt 0                                        // wait for swizzle operation
v_accvgpr_write_b32 acc76, v5                      // 
v_accvgpr_read_b32 v5, acc77                       // glvw 1 mb 4 tt1 13 r 0
s_nop 1                                            // v_accvgpr read vgpr after write vgpr: 2 wait states
ds_bpermute_b32 v5, v0, v5, offset:12              // permute edge values
s_waitcnt 0                                        // wait for swizzle operation
v_accvgpr_write_b32 acc77, v5                      // 
v_accvgpr_read_b32 v5, acc78                       // glvw 1 mb 4 tt1 14 r 0
s_nop 1                                            // v_accvgpr read vgpr after write vgpr: 2 wait states
ds_bpermute_b32 v5, v0, v5, offset:12              // permute edge values
s_waitcnt 0                                        // wait for swizzle operation
v_accvgpr_write_b32 acc78, v5                      // 
v_accvgpr_read_b32 v5, acc79                       // glvw 1 mb 4 tt1 15 r 0
s_nop 1                                            // v_accvgpr read vgpr after write vgpr: 2 wait states
ds_bpermute_b32 v5, v0, v5, offset:12              // permute edge values
s_waitcnt 0                                        // wait for swizzle operation
v_accvgpr_write_b32 acc79, v5                      // 
s_mov_b64 s[10:11], 0xFFFFFFFFFFFFFFFF             // to restore all threads active
s_or_saveexec_b64 vcc, s[10:11]                    // all threads active
s_branch label_0052                                // done shifting


/******************************************/
/* shift d0 r=2 mb=0 vw0                  */
/******************************************/
label_0032: // r2 mb0 vw0 
s_mov_b32 s10, 0                                   // 
_v_cmpx_eq_u32 s[10:11], v4, s10                   // is thread in edge glvw region
v_and_b32 v0, 63, v[vgprSerial]                    // permute register between threads
v_lshlrev_b32 v0, 2, v0                            // permute register between threads
v_accvgpr_read_b32 v5, acc0                        // glvw 2 mb 0 tt1 0 r 0
s_nop 1                                            // v_accvgpr read vgpr after write vgpr: 2 wait states
ds_bpermute_b32 v5, v0, v5, offset:8               // permute edge values
s_waitcnt 0                                        // wait for swizzle operation
v_accvgpr_write_b32 acc0, v5                       // 
v_accvgpr_read_b32 v5, acc1                        // glvw 2 mb 0 tt1 1 r 0
s_nop 1                                            // v_accvgpr read vgpr after write vgpr: 2 wait states
ds_bpermute_b32 v5, v0, v5, offset:8               // permute edge values
s_waitcnt 0                                        // wait for swizzle operation
v_accvgpr_write_b32 acc1, v5                       // 
v_accvgpr_read_b32 v5, acc2                        // glvw 2 mb 0 tt1 2 r 0
s_nop 1                                            // v_accvgpr read vgpr after write vgpr: 2 wait states
ds_bpermute_b32 v5, v0, v5, offset:8               // permute edge values
s_waitcnt 0                                        // wait for swizzle operation
v_accvgpr_write_b32 acc2, v5                       // 
v_accvgpr_read_b32 v5, acc3                        // glvw 2 mb 0 tt1 3 r 0
s_nop 1                                            // v_accvgpr read vgpr after write vgpr: 2 wait states
ds_bpermute_b32 v5, v0, v5, offset:8               // permute edge values
s_waitcnt 0                                        // wait for swizzle operation
v_accvgpr_write_b32 acc3, v5                       // 
v_accvgpr_read_b32 v5, acc4                        // glvw 2 mb 0 tt1 4 r 0
s_nop 1                                            // v_accvgpr read vgpr after write vgpr: 2 wait states
ds_bpermute_b32 v5, v0, v5, offset:8               // permute edge values
s_waitcnt 0                                        // wait for swizzle operation
v_accvgpr_write_b32 acc4, v5                       // 
v_accvgpr_read_b32 v5, acc5                        // glvw 2 mb 0 tt1 5 r 0
s_nop 1                                            // v_accvgpr read vgpr after write vgpr: 2 wait states
ds_bpermute_b32 v5, v0, v5, offset:8               // permute edge values
s_waitcnt 0                                        // wait for swizzle operation
v_accvgpr_write_b32 acc5, v5                       // 
v_accvgpr_read_b32 v5, acc6                        // glvw 2 mb 0 tt1 6 r 0
s_nop 1                                            // v_accvgpr read vgpr after write vgpr: 2 wait states
ds_bpermute_b32 v5, v0, v5, offset:8               // permute edge values
s_waitcnt 0                                        // wait for swizzle operation
v_accvgpr_write_b32 acc6, v5                       // 
v_accvgpr_read_b32 v5, acc7                        // glvw 2 mb 0 tt1 7 r 0
s_nop 1                                            // v_accvgpr read vgpr after write vgpr: 2 wait states
ds_bpermute_b32 v5, v0, v5, offset:8               // permute edge values
s_waitcnt 0                                        // wait for swizzle operation
v_accvgpr_write_b32 acc7, v5                       // 
v_accvgpr_read_b32 v5, acc8                        // glvw 2 mb 0 tt1 8 r 0
s_nop 1                                            // v_accvgpr read vgpr after write vgpr: 2 wait states
ds_bpermute_b32 v5, v0, v5, offset:8               // permute edge values
s_waitcnt 0                                        // wait for swizzle operation
v_accvgpr_write_b32 acc8, v5                       // 
v_accvgpr_read_b32 v5, acc9                        // glvw 2 mb 0 tt1 9 r 0
s_nop 1                                            // v_accvgpr read vgpr after write vgpr: 2 wait states
ds_bpermute_b32 v5, v0, v5, offset:8               // permute edge values
s_waitcnt 0                                        // wait for swizzle operation
v_accvgpr_write_b32 acc9, v5                       // 
v_accvgpr_read_b32 v5, acc10                       // glvw 2 mb 0 tt1 10 r 0
s_nop 1                                            // v_accvgpr read vgpr after write vgpr: 2 wait states
ds_bpermute_b32 v5, v0, v5, offset:8               // permute edge values
s_waitcnt 0                                        // wait for swizzle operation
v_accvgpr_write_b32 acc10, v5                      // 
v_accvgpr_read_b32 v5, acc11                       // glvw 2 mb 0 tt1 11 r 0
s_nop 1                                            // v_accvgpr read vgpr after write vgpr: 2 wait states
ds_bpermute_b32 v5, v0, v5, offset:8               // permute edge values
s_waitcnt 0                                        // wait for swizzle operation
v_accvgpr_write_b32 acc11, v5                      // 
v_accvgpr_read_b32 v5, acc12                       // glvw 2 mb 0 tt1 12 r 0
s_nop 1                                            // v_accvgpr read vgpr after write vgpr: 2 wait states
ds_bpermute_b32 v5, v0, v5, offset:8               // permute edge values
s_waitcnt 0                                        // wait for swizzle operation
v_accvgpr_write_b32 acc12, v5                      // 
v_accvgpr_read_b32 v5, acc13                       // glvw 2 mb 0 tt1 13 r 0
s_nop 1                                            // v_accvgpr read vgpr after write vgpr: 2 wait states
ds_bpermute_b32 v5, v0, v5, offset:8               // permute edge values
s_waitcnt 0                                        // wait for swizzle operation
v_accvgpr_write_b32 acc13, v5                      // 
v_accvgpr_read_b32 v5, acc14                       // glvw 2 mb 0 tt1 14 r 0
s_nop 1                                            // v_accvgpr read vgpr after write vgpr: 2 wait states
ds_bpermute_b32 v5, v0, v5, offset:8               // permute edge values
s_waitcnt 0                                        // wait for swizzle operation
v_accvgpr_write_b32 acc14, v5                      // 
v_accvgpr_read_b32 v5, acc15                       // glvw 2 mb 0 tt1 15 r 0
s_nop 1                                            // v_accvgpr read vgpr after write vgpr: 2 wait states
ds_bpermute_b32 v5, v0, v5, offset:8               // permute edge values
s_waitcnt 0                                        // wait for swizzle operation
v_accvgpr_write_b32 acc15, v5                      // 
s_mov_b64 s[10:11], 0xFFFFFFFFFFFFFFFF             // to restore all threads active
s_or_saveexec_b64 vcc, s[10:11]                    // all threads active
s_branch label_0052                                // done shifting


/******************************************/
/* shift d0 r=2 mb=1 vw0                  */
/******************************************/
label_0034: // r2 mb1 vw0 
s_mov_b32 s10, 8                                   // 
_v_cmpx_eq_u32 s[10:11], v4, s10                   // is thread in edge glvw region
v_and_b32 v0, 63, v[vgprSerial]                    // permute register between threads
v_lshlrev_b32 v0, 2, v0                            // permute register between threads
v_accvgpr_read_b32 v5, acc16                       // glvw 2 mb 1 tt1 0 r 0
s_nop 1                                            // v_accvgpr read vgpr after write vgpr: 2 wait states
ds_bpermute_b32 v5, v0, v5, offset:8               // permute edge values
s_waitcnt 0                                        // wait for swizzle operation
v_accvgpr_write_b32 acc16, v5                      // 
v_accvgpr_read_b32 v5, acc17                       // glvw 2 mb 1 tt1 1 r 0
s_nop 1                                            // v_accvgpr read vgpr after write vgpr: 2 wait states
ds_bpermute_b32 v5, v0, v5, offset:8               // permute edge values
s_waitcnt 0                                        // wait for swizzle operation
v_accvgpr_write_b32 acc17, v5                      // 
v_accvgpr_read_b32 v5, acc18                       // glvw 2 mb 1 tt1 2 r 0
s_nop 1                                            // v_accvgpr read vgpr after write vgpr: 2 wait states
ds_bpermute_b32 v5, v0, v5, offset:8               // permute edge values
s_waitcnt 0                                        // wait for swizzle operation
v_accvgpr_write_b32 acc18, v5                      // 
v_accvgpr_read_b32 v5, acc19                       // glvw 2 mb 1 tt1 3 r 0
s_nop 1                                            // v_accvgpr read vgpr after write vgpr: 2 wait states
ds_bpermute_b32 v5, v0, v5, offset:8               // permute edge values
s_waitcnt 0                                        // wait for swizzle operation
v_accvgpr_write_b32 acc19, v5                      // 
v_accvgpr_read_b32 v5, acc20                       // glvw 2 mb 1 tt1 4 r 0
s_nop 1                                            // v_accvgpr read vgpr after write vgpr: 2 wait states
ds_bpermute_b32 v5, v0, v5, offset:8               // permute edge values
s_waitcnt 0                                        // wait for swizzle operation
v_accvgpr_write_b32 acc20, v5                      // 
v_accvgpr_read_b32 v5, acc21                       // glvw 2 mb 1 tt1 5 r 0
s_nop 1                                            // v_accvgpr read vgpr after write vgpr: 2 wait states
ds_bpermute_b32 v5, v0, v5, offset:8               // permute edge values
s_waitcnt 0                                        // wait for swizzle operation
v_accvgpr_write_b32 acc21, v5                      // 
v_accvgpr_read_b32 v5, acc22                       // glvw 2 mb 1 tt1 6 r 0
s_nop 1                                            // v_accvgpr read vgpr after write vgpr: 2 wait states
ds_bpermute_b32 v5, v0, v5, offset:8               // permute edge values
s_waitcnt 0                                        // wait for swizzle operation
v_accvgpr_write_b32 acc22, v5                      // 
v_accvgpr_read_b32 v5, acc23                       // glvw 2 mb 1 tt1 7 r 0
s_nop 1                                            // v_accvgpr read vgpr after write vgpr: 2 wait states
ds_bpermute_b32 v5, v0, v5, offset:8               // permute edge values
s_waitcnt 0                                        // wait for swizzle operation
v_accvgpr_write_b32 acc23, v5                      // 
v_accvgpr_read_b32 v5, acc24                       // glvw 2 mb 1 tt1 8 r 0
s_nop 1                                            // v_accvgpr read vgpr after write vgpr: 2 wait states
ds_bpermute_b32 v5, v0, v5, offset:8               // permute edge values
s_waitcnt 0                                        // wait for swizzle operation
v_accvgpr_write_b32 acc24, v5                      // 
v_accvgpr_read_b32 v5, acc25                       // glvw 2 mb 1 tt1 9 r 0
s_nop 1                                            // v_accvgpr read vgpr after write vgpr: 2 wait states
ds_bpermute_b32 v5, v0, v5, offset:8               // permute edge values
s_waitcnt 0                                        // wait for swizzle operation
v_accvgpr_write_b32 acc25, v5                      // 
v_accvgpr_read_b32 v5, acc26                       // glvw 2 mb 1 tt1 10 r 0
s_nop 1                                            // v_accvgpr read vgpr after write vgpr: 2 wait states
ds_bpermute_b32 v5, v0, v5, offset:8               // permute edge values
s_waitcnt 0                                        // wait for swizzle operation
v_accvgpr_write_b32 acc26, v5                      // 
v_accvgpr_read_b32 v5, acc27                       // glvw 2 mb 1 tt1 11 r 0
s_nop 1                                            // v_accvgpr read vgpr after write vgpr: 2 wait states
ds_bpermute_b32 v5, v0, v5, offset:8               // permute edge values
s_waitcnt 0                                        // wait for swizzle operation
v_accvgpr_write_b32 acc27, v5                      // 
v_accvgpr_read_b32 v5, acc28                       // glvw 2 mb 1 tt1 12 r 0
s_nop 1                                            // v_accvgpr read vgpr after write vgpr: 2 wait states
ds_bpermute_b32 v5, v0, v5, offset:8               // permute edge values
s_waitcnt 0                                        // wait for swizzle operation
v_accvgpr_write_b32 acc28, v5                      // 
v_accvgpr_read_b32 v5, acc29                       // glvw 2 mb 1 tt1 13 r 0
s_nop 1                                            // v_accvgpr read vgpr after write vgpr: 2 wait states
ds_bpermute_b32 v5, v0, v5, offset:8               // permute edge values
s_waitcnt 0                                        // wait for swizzle operation
v_accvgpr_write_b32 acc29, v5                      // 
v_accvgpr_read_b32 v5, acc30                       // glvw 2 mb 1 tt1 14 r 0
s_nop 1                                            // v_accvgpr read vgpr after write vgpr: 2 wait states
ds_bpermute_b32 v5, v0, v5, offset:8               // permute edge values
s_waitcnt 0                                        // wait for swizzle operation
v_accvgpr_write_b32 acc30, v5                      // 
v_accvgpr_read_b32 v5, acc31                       // glvw 2 mb 1 tt1 15 r 0
s_nop 1                                            // v_accvgpr read vgpr after write vgpr: 2 wait states
ds_bpermute_b32 v5, v0, v5, offset:8               // permute edge values
s_waitcnt 0                                        // wait for swizzle operation
v_accvgpr_write_b32 acc31, v5                      // 
s_mov_b64 s[10:11], 0xFFFFFFFFFFFFFFFF             // to restore all threads active
s_or_saveexec_b64 vcc, s[10:11]                    // all threads active
s_branch label_0052                                // done shifting


/******************************************/
/* shift d0 r=2 mb=2 vw0                  */
/******************************************/
label_0036: // r2 mb2 vw0 
s_mov_b32 s10, 16                                  // 
_v_cmpx_eq_u32 s[10:11], v4, s10                   // is thread in edge glvw region
v_and_b32 v0, 63, v[vgprSerial]                    // permute register between threads
v_lshlrev_b32 v0, 2, v0                            // permute register between threads
v_accvgpr_read_b32 v5, acc32                       // glvw 2 mb 2 tt1 0 r 0
s_nop 1                                            // v_accvgpr read vgpr after write vgpr: 2 wait states
ds_bpermute_b32 v5, v0, v5, offset:8               // permute edge values
s_waitcnt 0                                        // wait for swizzle operation
v_accvgpr_write_b32 acc32, v5                      // 
v_accvgpr_read_b32 v5, acc33                       // glvw 2 mb 2 tt1 1 r 0
s_nop 1                                            // v_accvgpr read vgpr after write vgpr: 2 wait states
ds_bpermute_b32 v5, v0, v5, offset:8               // permute edge values
s_waitcnt 0                                        // wait for swizzle operation
v_accvgpr_write_b32 acc33, v5                      // 
v_accvgpr_read_b32 v5, acc34                       // glvw 2 mb 2 tt1 2 r 0
s_nop 1                                            // v_accvgpr read vgpr after write vgpr: 2 wait states
ds_bpermute_b32 v5, v0, v5, offset:8               // permute edge values
s_waitcnt 0                                        // wait for swizzle operation
v_accvgpr_write_b32 acc34, v5                      // 
v_accvgpr_read_b32 v5, acc35                       // glvw 2 mb 2 tt1 3 r 0
s_nop 1                                            // v_accvgpr read vgpr after write vgpr: 2 wait states
ds_bpermute_b32 v5, v0, v5, offset:8               // permute edge values
s_waitcnt 0                                        // wait for swizzle operation
v_accvgpr_write_b32 acc35, v5                      // 
v_accvgpr_read_b32 v5, acc36                       // glvw 2 mb 2 tt1 4 r 0
s_nop 1                                            // v_accvgpr read vgpr after write vgpr: 2 wait states
ds_bpermute_b32 v5, v0, v5, offset:8               // permute edge values
s_waitcnt 0                                        // wait for swizzle operation
v_accvgpr_write_b32 acc36, v5                      // 
v_accvgpr_read_b32 v5, acc37                       // glvw 2 mb 2 tt1 5 r 0
s_nop 1                                            // v_accvgpr read vgpr after write vgpr: 2 wait states
ds_bpermute_b32 v5, v0, v5, offset:8               // permute edge values
s_waitcnt 0                                        // wait for swizzle operation
v_accvgpr_write_b32 acc37, v5                      // 
v_accvgpr_read_b32 v5, acc38                       // glvw 2 mb 2 tt1 6 r 0
s_nop 1                                            // v_accvgpr read vgpr after write vgpr: 2 wait states
ds_bpermute_b32 v5, v0, v5, offset:8               // permute edge values
s_waitcnt 0                                        // wait for swizzle operation
v_accvgpr_write_b32 acc38, v5                      // 
v_accvgpr_read_b32 v5, acc39                       // glvw 2 mb 2 tt1 7 r 0
s_nop 1                                            // v_accvgpr read vgpr after write vgpr: 2 wait states
ds_bpermute_b32 v5, v0, v5, offset:8               // permute edge values
s_waitcnt 0                                        // wait for swizzle operation
v_accvgpr_write_b32 acc39, v5                      // 
v_accvgpr_read_b32 v5, acc40                       // glvw 2 mb 2 tt1 8 r 0
s_nop 1                                            // v_accvgpr read vgpr after write vgpr: 2 wait states
ds_bpermute_b32 v5, v0, v5, offset:8               // permute edge values
s_waitcnt 0                                        // wait for swizzle operation
v_accvgpr_write_b32 acc40, v5                      // 
v_accvgpr_read_b32 v5, acc41                       // glvw 2 mb 2 tt1 9 r 0
s_nop 1                                            // v_accvgpr read vgpr after write vgpr: 2 wait states
ds_bpermute_b32 v5, v0, v5, offset:8               // permute edge values
s_waitcnt 0                                        // wait for swizzle operation
v_accvgpr_write_b32 acc41, v5                      // 
v_accvgpr_read_b32 v5, acc42                       // glvw 2 mb 2 tt1 10 r 0
s_nop 1                                            // v_accvgpr read vgpr after write vgpr: 2 wait states
ds_bpermute_b32 v5, v0, v5, offset:8               // permute edge values
s_waitcnt 0                                        // wait for swizzle operation
v_accvgpr_write_b32 acc42, v5                      // 
v_accvgpr_read_b32 v5, acc43                       // glvw 2 mb 2 tt1 11 r 0
s_nop 1                                            // v_accvgpr read vgpr after write vgpr: 2 wait states
ds_bpermute_b32 v5, v0, v5, offset:8               // permute edge values
s_waitcnt 0                                        // wait for swizzle operation
v_accvgpr_write_b32 acc43, v5                      // 
v_accvgpr_read_b32 v5, acc44                       // glvw 2 mb 2 tt1 12 r 0
s_nop 1                                            // v_accvgpr read vgpr after write vgpr: 2 wait states
ds_bpermute_b32 v5, v0, v5, offset:8               // permute edge values
s_waitcnt 0                                        // wait for swizzle operation
v_accvgpr_write_b32 acc44, v5                      // 
v_accvgpr_read_b32 v5, acc45                       // glvw 2 mb 2 tt1 13 r 0
s_nop 1                                            // v_accvgpr read vgpr after write vgpr: 2 wait states
ds_bpermute_b32 v5, v0, v5, offset:8               // permute edge values
s_waitcnt 0                                        // wait for swizzle operation
v_accvgpr_write_b32 acc45, v5                      // 
v_accvgpr_read_b32 v5, acc46                       // glvw 2 mb 2 tt1 14 r 0
s_nop 1                                            // v_accvgpr read vgpr after write vgpr: 2 wait states
ds_bpermute_b32 v5, v0, v5, offset:8               // permute edge values
s_waitcnt 0                                        // wait for swizzle operation
v_accvgpr_write_b32 acc46, v5                      // 
v_accvgpr_read_b32 v5, acc47                       // glvw 2 mb 2 tt1 15 r 0
s_nop 1                                            // v_accvgpr read vgpr after write vgpr: 2 wait states
ds_bpermute_b32 v5, v0, v5, offset:8               // permute edge values
s_waitcnt 0                                        // wait for swizzle operation
v_accvgpr_write_b32 acc47, v5                      // 
s_mov_b64 s[10:11], 0xFFFFFFFFFFFFFFFF             // to restore all threads active
s_or_saveexec_b64 vcc, s[10:11]                    // all threads active
s_branch label_0052                                // done shifting


/******************************************/
/* shift d0 r=2 mb=3 vw0                  */
/******************************************/
label_0038: // r2 mb3 vw0 
s_mov_b32 s10, 24                                  // 
_v_cmpx_eq_u32 s[10:11], v4, s10                   // is thread in edge glvw region
v_and_b32 v0, 63, v[vgprSerial]                    // permute register between threads
v_lshlrev_b32 v0, 2, v0                            // permute register between threads
v_accvgpr_read_b32 v5, acc48                       // glvw 2 mb 3 tt1 0 r 0
s_nop 1                                            // v_accvgpr read vgpr after write vgpr: 2 wait states
ds_bpermute_b32 v5, v0, v5, offset:8               // permute edge values
s_waitcnt 0                                        // wait for swizzle operation
v_accvgpr_write_b32 acc48, v5                      // 
v_accvgpr_read_b32 v5, acc49                       // glvw 2 mb 3 tt1 1 r 0
s_nop 1                                            // v_accvgpr read vgpr after write vgpr: 2 wait states
ds_bpermute_b32 v5, v0, v5, offset:8               // permute edge values
s_waitcnt 0                                        // wait for swizzle operation
v_accvgpr_write_b32 acc49, v5                      // 
v_accvgpr_read_b32 v5, acc50                       // glvw 2 mb 3 tt1 2 r 0
s_nop 1                                            // v_accvgpr read vgpr after write vgpr: 2 wait states
ds_bpermute_b32 v5, v0, v5, offset:8               // permute edge values
s_waitcnt 0                                        // wait for swizzle operation
v_accvgpr_write_b32 acc50, v5                      // 
v_accvgpr_read_b32 v5, acc51                       // glvw 2 mb 3 tt1 3 r 0
s_nop 1                                            // v_accvgpr read vgpr after write vgpr: 2 wait states
ds_bpermute_b32 v5, v0, v5, offset:8               // permute edge values
s_waitcnt 0                                        // wait for swizzle operation
v_accvgpr_write_b32 acc51, v5                      // 
v_accvgpr_read_b32 v5, acc52                       // glvw 2 mb 3 tt1 4 r 0
s_nop 1                                            // v_accvgpr read vgpr after write vgpr: 2 wait states
ds_bpermute_b32 v5, v0, v5, offset:8               // permute edge values
s_waitcnt 0                                        // wait for swizzle operation
v_accvgpr_write_b32 acc52, v5                      // 
v_accvgpr_read_b32 v5, acc53                       // glvw 2 mb 3 tt1 5 r 0
s_nop 1                                            // v_accvgpr read vgpr after write vgpr: 2 wait states
ds_bpermute_b32 v5, v0, v5, offset:8               // permute edge values
s_waitcnt 0                                        // wait for swizzle operation
v_accvgpr_write_b32 acc53, v5                      // 
v_accvgpr_read_b32 v5, acc54                       // glvw 2 mb 3 tt1 6 r 0
s_nop 1                                            // v_accvgpr read vgpr after write vgpr: 2 wait states
ds_bpermute_b32 v5, v0, v5, offset:8               // permute edge values
s_waitcnt 0                                        // wait for swizzle operation
v_accvgpr_write_b32 acc54, v5                      // 
v_accvgpr_read_b32 v5, acc55                       // glvw 2 mb 3 tt1 7 r 0
s_nop 1                                            // v_accvgpr read vgpr after write vgpr: 2 wait states
ds_bpermute_b32 v5, v0, v5, offset:8               // permute edge values
s_waitcnt 0                                        // wait for swizzle operation
v_accvgpr_write_b32 acc55, v5                      // 
v_accvgpr_read_b32 v5, acc56                       // glvw 2 mb 3 tt1 8 r 0
s_nop 1                                            // v_accvgpr read vgpr after write vgpr: 2 wait states
ds_bpermute_b32 v5, v0, v5, offset:8               // permute edge values
s_waitcnt 0                                        // wait for swizzle operation
v_accvgpr_write_b32 acc56, v5                      // 
v_accvgpr_read_b32 v5, acc57                       // glvw 2 mb 3 tt1 9 r 0
s_nop 1                                            // v_accvgpr read vgpr after write vgpr: 2 wait states
ds_bpermute_b32 v5, v0, v5, offset:8               // permute edge values
s_waitcnt 0                                        // wait for swizzle operation
v_accvgpr_write_b32 acc57, v5                      // 
v_accvgpr_read_b32 v5, acc58                       // glvw 2 mb 3 tt1 10 r 0
s_nop 1                                            // v_accvgpr read vgpr after write vgpr: 2 wait states
ds_bpermute_b32 v5, v0, v5, offset:8               // permute edge values
s_waitcnt 0                                        // wait for swizzle operation
v_accvgpr_write_b32 acc58, v5                      // 
v_accvgpr_read_b32 v5, acc59                       // glvw 2 mb 3 tt1 11 r 0
s_nop 1                                            // v_accvgpr read vgpr after write vgpr: 2 wait states
ds_bpermute_b32 v5, v0, v5, offset:8               // permute edge values
s_waitcnt 0                                        // wait for swizzle operation
v_accvgpr_write_b32 acc59, v5                      // 
v_accvgpr_read_b32 v5, acc60                       // glvw 2 mb 3 tt1 12 r 0
s_nop 1                                            // v_accvgpr read vgpr after write vgpr: 2 wait states
ds_bpermute_b32 v5, v0, v5, offset:8               // permute edge values
s_waitcnt 0                                        // wait for swizzle operation
v_accvgpr_write_b32 acc60, v5                      // 
v_accvgpr_read_b32 v5, acc61                       // glvw 2 mb 3 tt1 13 r 0
s_nop 1                                            // v_accvgpr read vgpr after write vgpr: 2 wait states
ds_bpermute_b32 v5, v0, v5, offset:8               // permute edge values
s_waitcnt 0                                        // wait for swizzle operation
v_accvgpr_write_b32 acc61, v5                      // 
v_accvgpr_read_b32 v5, acc62                       // glvw 2 mb 3 tt1 14 r 0
s_nop 1                                            // v_accvgpr read vgpr after write vgpr: 2 wait states
ds_bpermute_b32 v5, v0, v5, offset:8               // permute edge values
s_waitcnt 0                                        // wait for swizzle operation
v_accvgpr_write_b32 acc62, v5                      // 
v_accvgpr_read_b32 v5, acc63                       // glvw 2 mb 3 tt1 15 r 0
s_nop 1                                            // v_accvgpr read vgpr after write vgpr: 2 wait states
ds_bpermute_b32 v5, v0, v5, offset:8               // permute edge values
s_waitcnt 0                                        // wait for swizzle operation
v_accvgpr_write_b32 acc63, v5                      // 
s_mov_b64 s[10:11], 0xFFFFFFFFFFFFFFFF             // to restore all threads active
s_or_saveexec_b64 vcc, s[10:11]                    // all threads active
s_branch label_0052                                // done shifting


/******************************************/
/* shift d0 r=2 mb=4 vw0                  */
/******************************************/
label_0040: // r2 mb4 vw0 
s_mov_b32 s10, 32                                  // 
_v_cmpx_eq_u32 s[10:11], v4, s10                   // is thread in edge glvw region
v_and_b32 v0, 63, v[vgprSerial]                    // permute register between threads
v_lshlrev_b32 v0, 2, v0                            // permute register between threads
v_accvgpr_read_b32 v5, acc64                       // glvw 2 mb 4 tt1 0 r 0
s_nop 1                                            // v_accvgpr read vgpr after write vgpr: 2 wait states
ds_bpermute_b32 v5, v0, v5, offset:8               // permute edge values
s_waitcnt 0                                        // wait for swizzle operation
v_accvgpr_write_b32 acc64, v5                      // 
v_accvgpr_read_b32 v5, acc65                       // glvw 2 mb 4 tt1 1 r 0
s_nop 1                                            // v_accvgpr read vgpr after write vgpr: 2 wait states
ds_bpermute_b32 v5, v0, v5, offset:8               // permute edge values
s_waitcnt 0                                        // wait for swizzle operation
v_accvgpr_write_b32 acc65, v5                      // 
v_accvgpr_read_b32 v5, acc66                       // glvw 2 mb 4 tt1 2 r 0
s_nop 1                                            // v_accvgpr read vgpr after write vgpr: 2 wait states
ds_bpermute_b32 v5, v0, v5, offset:8               // permute edge values
s_waitcnt 0                                        // wait for swizzle operation
v_accvgpr_write_b32 acc66, v5                      // 
v_accvgpr_read_b32 v5, acc67                       // glvw 2 mb 4 tt1 3 r 0
s_nop 1                                            // v_accvgpr read vgpr after write vgpr: 2 wait states
ds_bpermute_b32 v5, v0, v5, offset:8               // permute edge values
s_waitcnt 0                                        // wait for swizzle operation
v_accvgpr_write_b32 acc67, v5                      // 
v_accvgpr_read_b32 v5, acc68                       // glvw 2 mb 4 tt1 4 r 0
s_nop 1                                            // v_accvgpr read vgpr after write vgpr: 2 wait states
ds_bpermute_b32 v5, v0, v5, offset:8               // permute edge values
s_waitcnt 0                                        // wait for swizzle operation
v_accvgpr_write_b32 acc68, v5                      // 
v_accvgpr_read_b32 v5, acc69                       // glvw 2 mb 4 tt1 5 r 0
s_nop 1                                            // v_accvgpr read vgpr after write vgpr: 2 wait states
ds_bpermute_b32 v5, v0, v5, offset:8               // permute edge values
s_waitcnt 0                                        // wait for swizzle operation
v_accvgpr_write_b32 acc69, v5                      // 
v_accvgpr_read_b32 v5, acc70                       // glvw 2 mb 4 tt1 6 r 0
s_nop 1                                            // v_accvgpr read vgpr after write vgpr: 2 wait states
ds_bpermute_b32 v5, v0, v5, offset:8               // permute edge values
s_waitcnt 0                                        // wait for swizzle operation
v_accvgpr_write_b32 acc70, v5                      // 
v_accvgpr_read_b32 v5, acc71                       // glvw 2 mb 4 tt1 7 r 0
s_nop 1                                            // v_accvgpr read vgpr after write vgpr: 2 wait states
ds_bpermute_b32 v5, v0, v5, offset:8               // permute edge values
s_waitcnt 0                                        // wait for swizzle operation
v_accvgpr_write_b32 acc71, v5                      // 
v_accvgpr_read_b32 v5, acc72                       // glvw 2 mb 4 tt1 8 r 0
s_nop 1                                            // v_accvgpr read vgpr after write vgpr: 2 wait states
ds_bpermute_b32 v5, v0, v5, offset:8               // permute edge values
s_waitcnt 0                                        // wait for swizzle operation
v_accvgpr_write_b32 acc72, v5                      // 
v_accvgpr_read_b32 v5, acc73                       // glvw 2 mb 4 tt1 9 r 0
s_nop 1                                            // v_accvgpr read vgpr after write vgpr: 2 wait states
ds_bpermute_b32 v5, v0, v5, offset:8               // permute edge values
s_waitcnt 0                                        // wait for swizzle operation
v_accvgpr_write_b32 acc73, v5                      // 
v_accvgpr_read_b32 v5, acc74                       // glvw 2 mb 4 tt1 10 r 0
s_nop 1                                            // v_accvgpr read vgpr after write vgpr: 2 wait states
ds_bpermute_b32 v5, v0, v5, offset:8               // permute edge values
s_waitcnt 0                                        // wait for swizzle operation
v_accvgpr_write_b32 acc74, v5                      // 
v_accvgpr_read_b32 v5, acc75                       // glvw 2 mb 4 tt1 11 r 0
s_nop 1                                            // v_accvgpr read vgpr after write vgpr: 2 wait states
ds_bpermute_b32 v5, v0, v5, offset:8               // permute edge values
s_waitcnt 0                                        // wait for swizzle operation
v_accvgpr_write_b32 acc75, v5                      // 
v_accvgpr_read_b32 v5, acc76                       // glvw 2 mb 4 tt1 12 r 0
s_nop 1                                            // v_accvgpr read vgpr after write vgpr: 2 wait states
ds_bpermute_b32 v5, v0, v5, offset:8               // permute edge values
s_waitcnt 0                                        // wait for swizzle operation
v_accvgpr_write_b32 acc76, v5                      // 
v_accvgpr_read_b32 v5, acc77                       // glvw 2 mb 4 tt1 13 r 0
s_nop 1                                            // v_accvgpr read vgpr after write vgpr: 2 wait states
ds_bpermute_b32 v5, v0, v5, offset:8               // permute edge values
s_waitcnt 0                                        // wait for swizzle operation
v_accvgpr_write_b32 acc77, v5                      // 
v_accvgpr_read_b32 v5, acc78                       // glvw 2 mb 4 tt1 14 r 0
s_nop 1                                            // v_accvgpr read vgpr after write vgpr: 2 wait states
ds_bpermute_b32 v5, v0, v5, offset:8               // permute edge values
s_waitcnt 0                                        // wait for swizzle operation
v_accvgpr_write_b32 acc78, v5                      // 
v_accvgpr_read_b32 v5, acc79                       // glvw 2 mb 4 tt1 15 r 0
s_nop 1                                            // v_accvgpr read vgpr after write vgpr: 2 wait states
ds_bpermute_b32 v5, v0, v5, offset:8               // permute edge values
s_waitcnt 0                                        // wait for swizzle operation
v_accvgpr_write_b32 acc79, v5                      // 
s_mov_b64 s[10:11], 0xFFFFFFFFFFFFFFFF             // to restore all threads active
s_or_saveexec_b64 vcc, s[10:11]                    // all threads active
s_branch label_0052                                // done shifting


/******************************************/
/* shift d0 r=3 mb=0 vw0                  */
/******************************************/
label_0043: // r3 mb0 vw0 
s_mov_b32 s10, 0                                   // 
_v_cmpx_eq_u32 s[10:11], v4, s10                   // is thread in edge glvw region
v_and_b32 v0, 63, v[vgprSerial]                    // permute register between threads
v_lshlrev_b32 v0, 2, v0                            // permute register between threads
v_accvgpr_read_b32 v5, acc0                        // glvw 3 mb 0 tt1 0 r 0
s_nop 1                                            // v_accvgpr read vgpr after write vgpr: 2 wait states
ds_bpermute_b32 v5, v0, v5, offset:4               // permute edge values
s_waitcnt 0                                        // wait for swizzle operation
v_accvgpr_write_b32 acc0, v5                       // 
v_accvgpr_read_b32 v5, acc1                        // glvw 3 mb 0 tt1 1 r 0
s_nop 1                                            // v_accvgpr read vgpr after write vgpr: 2 wait states
ds_bpermute_b32 v5, v0, v5, offset:4               // permute edge values
s_waitcnt 0                                        // wait for swizzle operation
v_accvgpr_write_b32 acc1, v5                       // 
v_accvgpr_read_b32 v5, acc2                        // glvw 3 mb 0 tt1 2 r 0
s_nop 1                                            // v_accvgpr read vgpr after write vgpr: 2 wait states
ds_bpermute_b32 v5, v0, v5, offset:4               // permute edge values
s_waitcnt 0                                        // wait for swizzle operation
v_accvgpr_write_b32 acc2, v5                       // 
v_accvgpr_read_b32 v5, acc3                        // glvw 3 mb 0 tt1 3 r 0
s_nop 1                                            // v_accvgpr read vgpr after write vgpr: 2 wait states
ds_bpermute_b32 v5, v0, v5, offset:4               // permute edge values
s_waitcnt 0                                        // wait for swizzle operation
v_accvgpr_write_b32 acc3, v5                       // 
v_accvgpr_read_b32 v5, acc4                        // glvw 3 mb 0 tt1 4 r 0
s_nop 1                                            // v_accvgpr read vgpr after write vgpr: 2 wait states
ds_bpermute_b32 v5, v0, v5, offset:4               // permute edge values
s_waitcnt 0                                        // wait for swizzle operation
v_accvgpr_write_b32 acc4, v5                       // 
v_accvgpr_read_b32 v5, acc5                        // glvw 3 mb 0 tt1 5 r 0
s_nop 1                                            // v_accvgpr read vgpr after write vgpr: 2 wait states
ds_bpermute_b32 v5, v0, v5, offset:4               // permute edge values
s_waitcnt 0                                        // wait for swizzle operation
v_accvgpr_write_b32 acc5, v5                       // 
v_accvgpr_read_b32 v5, acc6                        // glvw 3 mb 0 tt1 6 r 0
s_nop 1                                            // v_accvgpr read vgpr after write vgpr: 2 wait states
ds_bpermute_b32 v5, v0, v5, offset:4               // permute edge values
s_waitcnt 0                                        // wait for swizzle operation
v_accvgpr_write_b32 acc6, v5                       // 
v_accvgpr_read_b32 v5, acc7                        // glvw 3 mb 0 tt1 7 r 0
s_nop 1                                            // v_accvgpr read vgpr after write vgpr: 2 wait states
ds_bpermute_b32 v5, v0, v5, offset:4               // permute edge values
s_waitcnt 0                                        // wait for swizzle operation
v_accvgpr_write_b32 acc7, v5                       // 
v_accvgpr_read_b32 v5, acc8                        // glvw 3 mb 0 tt1 8 r 0
s_nop 1                                            // v_accvgpr read vgpr after write vgpr: 2 wait states
ds_bpermute_b32 v5, v0, v5, offset:4               // permute edge values
s_waitcnt 0                                        // wait for swizzle operation
v_accvgpr_write_b32 acc8, v5                       // 
v_accvgpr_read_b32 v5, acc9                        // glvw 3 mb 0 tt1 9 r 0
s_nop 1                                            // v_accvgpr read vgpr after write vgpr: 2 wait states
ds_bpermute_b32 v5, v0, v5, offset:4               // permute edge values
s_waitcnt 0                                        // wait for swizzle operation
v_accvgpr_write_b32 acc9, v5                       // 
v_accvgpr_read_b32 v5, acc10                       // glvw 3 mb 0 tt1 10 r 0
s_nop 1                                            // v_accvgpr read vgpr after write vgpr: 2 wait states
ds_bpermute_b32 v5, v0, v5, offset:4               // permute edge values
s_waitcnt 0                                        // wait for swizzle operation
v_accvgpr_write_b32 acc10, v5                      // 
v_accvgpr_read_b32 v5, acc11                       // glvw 3 mb 0 tt1 11 r 0
s_nop 1                                            // v_accvgpr read vgpr after write vgpr: 2 wait states
ds_bpermute_b32 v5, v0, v5, offset:4               // permute edge values
s_waitcnt 0                                        // wait for swizzle operation
v_accvgpr_write_b32 acc11, v5                      // 
v_accvgpr_read_b32 v5, acc12                       // glvw 3 mb 0 tt1 12 r 0
s_nop 1                                            // v_accvgpr read vgpr after write vgpr: 2 wait states
ds_bpermute_b32 v5, v0, v5, offset:4               // permute edge values
s_waitcnt 0                                        // wait for swizzle operation
v_accvgpr_write_b32 acc12, v5                      // 
v_accvgpr_read_b32 v5, acc13                       // glvw 3 mb 0 tt1 13 r 0
s_nop 1                                            // v_accvgpr read vgpr after write vgpr: 2 wait states
ds_bpermute_b32 v5, v0, v5, offset:4               // permute edge values
s_waitcnt 0                                        // wait for swizzle operation
v_accvgpr_write_b32 acc13, v5                      // 
v_accvgpr_read_b32 v5, acc14                       // glvw 3 mb 0 tt1 14 r 0
s_nop 1                                            // v_accvgpr read vgpr after write vgpr: 2 wait states
ds_bpermute_b32 v5, v0, v5, offset:4               // permute edge values
s_waitcnt 0                                        // wait for swizzle operation
v_accvgpr_write_b32 acc14, v5                      // 
v_accvgpr_read_b32 v5, acc15                       // glvw 3 mb 0 tt1 15 r 0
s_nop 1                                            // v_accvgpr read vgpr after write vgpr: 2 wait states
ds_bpermute_b32 v5, v0, v5, offset:4               // permute edge values
s_waitcnt 0                                        // wait for swizzle operation
v_accvgpr_write_b32 acc15, v5                      // 
s_mov_b64 s[10:11], 0xFFFFFFFFFFFFFFFF             // to restore all threads active
s_or_saveexec_b64 vcc, s[10:11]                    // all threads active
s_branch label_0052                                // done shifting


/******************************************/
/* shift d0 r=3 mb=1 vw0                  */
/******************************************/
label_0045: // r3 mb1 vw0 
s_mov_b32 s10, 8                                   // 
_v_cmpx_eq_u32 s[10:11], v4, s10                   // is thread in edge glvw region
v_and_b32 v0, 63, v[vgprSerial]                    // permute register between threads
v_lshlrev_b32 v0, 2, v0                            // permute register between threads
v_accvgpr_read_b32 v5, acc16                       // glvw 3 mb 1 tt1 0 r 0
s_nop 1                                            // v_accvgpr read vgpr after write vgpr: 2 wait states
ds_bpermute_b32 v5, v0, v5, offset:4               // permute edge values
s_waitcnt 0                                        // wait for swizzle operation
v_accvgpr_write_b32 acc16, v5                      // 
v_accvgpr_read_b32 v5, acc17                       // glvw 3 mb 1 tt1 1 r 0
s_nop 1                                            // v_accvgpr read vgpr after write vgpr: 2 wait states
ds_bpermute_b32 v5, v0, v5, offset:4               // permute edge values
s_waitcnt 0                                        // wait for swizzle operation
v_accvgpr_write_b32 acc17, v5                      // 
v_accvgpr_read_b32 v5, acc18                       // glvw 3 mb 1 tt1 2 r 0
s_nop 1                                            // v_accvgpr read vgpr after write vgpr: 2 wait states
ds_bpermute_b32 v5, v0, v5, offset:4               // permute edge values
s_waitcnt 0                                        // wait for swizzle operation
v_accvgpr_write_b32 acc18, v5                      // 
v_accvgpr_read_b32 v5, acc19                       // glvw 3 mb 1 tt1 3 r 0
s_nop 1                                            // v_accvgpr read vgpr after write vgpr: 2 wait states
ds_bpermute_b32 v5, v0, v5, offset:4               // permute edge values
s_waitcnt 0                                        // wait for swizzle operation
v_accvgpr_write_b32 acc19, v5                      // 
v_accvgpr_read_b32 v5, acc20                       // glvw 3 mb 1 tt1 4 r 0
s_nop 1                                            // v_accvgpr read vgpr after write vgpr: 2 wait states
ds_bpermute_b32 v5, v0, v5, offset:4               // permute edge values
s_waitcnt 0                                        // wait for swizzle operation
v_accvgpr_write_b32 acc20, v5                      // 
v_accvgpr_read_b32 v5, acc21                       // glvw 3 mb 1 tt1 5 r 0
s_nop 1                                            // v_accvgpr read vgpr after write vgpr: 2 wait states
ds_bpermute_b32 v5, v0, v5, offset:4               // permute edge values
s_waitcnt 0                                        // wait for swizzle operation
v_accvgpr_write_b32 acc21, v5                      // 
v_accvgpr_read_b32 v5, acc22                       // glvw 3 mb 1 tt1 6 r 0
s_nop 1                                            // v_accvgpr read vgpr after write vgpr: 2 wait states
ds_bpermute_b32 v5, v0, v5, offset:4               // permute edge values
s_waitcnt 0                                        // wait for swizzle operation
v_accvgpr_write_b32 acc22, v5                      // 
v_accvgpr_read_b32 v5, acc23                       // glvw 3 mb 1 tt1 7 r 0
s_nop 1                                            // v_accvgpr read vgpr after write vgpr: 2 wait states
ds_bpermute_b32 v5, v0, v5, offset:4               // permute edge values
s_waitcnt 0                                        // wait for swizzle operation
v_accvgpr_write_b32 acc23, v5                      // 
v_accvgpr_read_b32 v5, acc24                       // glvw 3 mb 1 tt1 8 r 0
s_nop 1                                            // v_accvgpr read vgpr after write vgpr: 2 wait states
ds_bpermute_b32 v5, v0, v5, offset:4               // permute edge values
s_waitcnt 0                                        // wait for swizzle operation
v_accvgpr_write_b32 acc24, v5                      // 
v_accvgpr_read_b32 v5, acc25                       // glvw 3 mb 1 tt1 9 r 0
s_nop 1                                            // v_accvgpr read vgpr after write vgpr: 2 wait states
ds_bpermute_b32 v5, v0, v5, offset:4               // permute edge values
s_waitcnt 0                                        // wait for swizzle operation
v_accvgpr_write_b32 acc25, v5                      // 
v_accvgpr_read_b32 v5, acc26                       // glvw 3 mb 1 tt1 10 r 0
s_nop 1                                            // v_accvgpr read vgpr after write vgpr: 2 wait states
ds_bpermute_b32 v5, v0, v5, offset:4               // permute edge values
s_waitcnt 0                                        // wait for swizzle operation
v_accvgpr_write_b32 acc26, v5                      // 
v_accvgpr_read_b32 v5, acc27                       // glvw 3 mb 1 tt1 11 r 0
s_nop 1                                            // v_accvgpr read vgpr after write vgpr: 2 wait states
ds_bpermute_b32 v5, v0, v5, offset:4               // permute edge values
s_waitcnt 0                                        // wait for swizzle operation
v_accvgpr_write_b32 acc27, v5                      // 
v_accvgpr_read_b32 v5, acc28                       // glvw 3 mb 1 tt1 12 r 0
s_nop 1                                            // v_accvgpr read vgpr after write vgpr: 2 wait states
ds_bpermute_b32 v5, v0, v5, offset:4               // permute edge values
s_waitcnt 0                                        // wait for swizzle operation
v_accvgpr_write_b32 acc28, v5                      // 
v_accvgpr_read_b32 v5, acc29                       // glvw 3 mb 1 tt1 13 r 0
s_nop 1                                            // v_accvgpr read vgpr after write vgpr: 2 wait states
ds_bpermute_b32 v5, v0, v5, offset:4               // permute edge values
s_waitcnt 0                                        // wait for swizzle operation
v_accvgpr_write_b32 acc29, v5                      // 
v_accvgpr_read_b32 v5, acc30                       // glvw 3 mb 1 tt1 14 r 0
s_nop 1                                            // v_accvgpr read vgpr after write vgpr: 2 wait states
ds_bpermute_b32 v5, v0, v5, offset:4               // permute edge values
s_waitcnt 0                                        // wait for swizzle operation
v_accvgpr_write_b32 acc30, v5                      // 
v_accvgpr_read_b32 v5, acc31                       // glvw 3 mb 1 tt1 15 r 0
s_nop 1                                            // v_accvgpr read vgpr after write vgpr: 2 wait states
ds_bpermute_b32 v5, v0, v5, offset:4               // permute edge values
s_waitcnt 0                                        // wait for swizzle operation
v_accvgpr_write_b32 acc31, v5                      // 
s_mov_b64 s[10:11], 0xFFFFFFFFFFFFFFFF             // to restore all threads active
s_or_saveexec_b64 vcc, s[10:11]                    // all threads active
s_branch label_0052                                // done shifting


/******************************************/
/* shift d0 r=3 mb=2 vw0                  */
/******************************************/
label_0047: // r3 mb2 vw0 
s_mov_b32 s10, 16                                  // 
_v_cmpx_eq_u32 s[10:11], v4, s10                   // is thread in edge glvw region
v_and_b32 v0, 63, v[vgprSerial]                    // permute register between threads
v_lshlrev_b32 v0, 2, v0                            // permute register between threads
v_accvgpr_read_b32 v5, acc32                       // glvw 3 mb 2 tt1 0 r 0
s_nop 1                                            // v_accvgpr read vgpr after write vgpr: 2 wait states
ds_bpermute_b32 v5, v0, v5, offset:4               // permute edge values
s_waitcnt 0                                        // wait for swizzle operation
v_accvgpr_write_b32 acc32, v5                      // 
v_accvgpr_read_b32 v5, acc33                       // glvw 3 mb 2 tt1 1 r 0
s_nop 1                                            // v_accvgpr read vgpr after write vgpr: 2 wait states
ds_bpermute_b32 v5, v0, v5, offset:4               // permute edge values
s_waitcnt 0                                        // wait for swizzle operation
v_accvgpr_write_b32 acc33, v5                      // 
v_accvgpr_read_b32 v5, acc34                       // glvw 3 mb 2 tt1 2 r 0
s_nop 1                                            // v_accvgpr read vgpr after write vgpr: 2 wait states
ds_bpermute_b32 v5, v0, v5, offset:4               // permute edge values
s_waitcnt 0                                        // wait for swizzle operation
v_accvgpr_write_b32 acc34, v5                      // 
v_accvgpr_read_b32 v5, acc35                       // glvw 3 mb 2 tt1 3 r 0
s_nop 1                                            // v_accvgpr read vgpr after write vgpr: 2 wait states
ds_bpermute_b32 v5, v0, v5, offset:4               // permute edge values
s_waitcnt 0                                        // wait for swizzle operation
v_accvgpr_write_b32 acc35, v5                      // 
v_accvgpr_read_b32 v5, acc36                       // glvw 3 mb 2 tt1 4 r 0
s_nop 1                                            // v_accvgpr read vgpr after write vgpr: 2 wait states
ds_bpermute_b32 v5, v0, v5, offset:4               // permute edge values
s_waitcnt 0                                        // wait for swizzle operation
v_accvgpr_write_b32 acc36, v5                      // 
v_accvgpr_read_b32 v5, acc37                       // glvw 3 mb 2 tt1 5 r 0
s_nop 1                                            // v_accvgpr read vgpr after write vgpr: 2 wait states
ds_bpermute_b32 v5, v0, v5, offset:4               // permute edge values
s_waitcnt 0                                        // wait for swizzle operation
v_accvgpr_write_b32 acc37, v5                      // 
v_accvgpr_read_b32 v5, acc38                       // glvw 3 mb 2 tt1 6 r 0
s_nop 1                                            // v_accvgpr read vgpr after write vgpr: 2 wait states
ds_bpermute_b32 v5, v0, v5, offset:4               // permute edge values
s_waitcnt 0                                        // wait for swizzle operation
v_accvgpr_write_b32 acc38, v5                      // 
v_accvgpr_read_b32 v5, acc39                       // glvw 3 mb 2 tt1 7 r 0
s_nop 1                                            // v_accvgpr read vgpr after write vgpr: 2 wait states
ds_bpermute_b32 v5, v0, v5, offset:4               // permute edge values
s_waitcnt 0                                        // wait for swizzle operation
v_accvgpr_write_b32 acc39, v5                      // 
v_accvgpr_read_b32 v5, acc40                       // glvw 3 mb 2 tt1 8 r 0
s_nop 1                                            // v_accvgpr read vgpr after write vgpr: 2 wait states
ds_bpermute_b32 v5, v0, v5, offset:4               // permute edge values
s_waitcnt 0                                        // wait for swizzle operation
v_accvgpr_write_b32 acc40, v5                      // 
v_accvgpr_read_b32 v5, acc41                       // glvw 3 mb 2 tt1 9 r 0
s_nop 1                                            // v_accvgpr read vgpr after write vgpr: 2 wait states
ds_bpermute_b32 v5, v0, v5, offset:4               // permute edge values
s_waitcnt 0                                        // wait for swizzle operation
v_accvgpr_write_b32 acc41, v5                      // 
v_accvgpr_read_b32 v5, acc42                       // glvw 3 mb 2 tt1 10 r 0
s_nop 1                                            // v_accvgpr read vgpr after write vgpr: 2 wait states
ds_bpermute_b32 v5, v0, v5, offset:4               // permute edge values
s_waitcnt 0                                        // wait for swizzle operation
v_accvgpr_write_b32 acc42, v5                      // 
v_accvgpr_read_b32 v5, acc43                       // glvw 3 mb 2 tt1 11 r 0
s_nop 1                                            // v_accvgpr read vgpr after write vgpr: 2 wait states
ds_bpermute_b32 v5, v0, v5, offset:4               // permute edge values
s_waitcnt 0                                        // wait for swizzle operation
v_accvgpr_write_b32 acc43, v5                      // 
v_accvgpr_read_b32 v5, acc44                       // glvw 3 mb 2 tt1 12 r 0
s_nop 1                                            // v_accvgpr read vgpr after write vgpr: 2 wait states
ds_bpermute_b32 v5, v0, v5, offset:4               // permute edge values
s_waitcnt 0                                        // wait for swizzle operation
v_accvgpr_write_b32 acc44, v5                      // 
v_accvgpr_read_b32 v5, acc45                       // glvw 3 mb 2 tt1 13 r 0
s_nop 1                                            // v_accvgpr read vgpr after write vgpr: 2 wait states
ds_bpermute_b32 v5, v0, v5, offset:4               // permute edge values
s_waitcnt 0                                        // wait for swizzle operation
v_accvgpr_write_b32 acc45, v5                      // 
v_accvgpr_read_b32 v5, acc46                       // glvw 3 mb 2 tt1 14 r 0
s_nop 1                                            // v_accvgpr read vgpr after write vgpr: 2 wait states
ds_bpermute_b32 v5, v0, v5, offset:4               // permute edge values
s_waitcnt 0                                        // wait for swizzle operation
v_accvgpr_write_b32 acc46, v5                      // 
v_accvgpr_read_b32 v5, acc47                       // glvw 3 mb 2 tt1 15 r 0
s_nop 1                                            // v_accvgpr read vgpr after write vgpr: 2 wait states
ds_bpermute_b32 v5, v0, v5, offset:4               // permute edge values
s_waitcnt 0                                        // wait for swizzle operation
v_accvgpr_write_b32 acc47, v5                      // 
s_mov_b64 s[10:11], 0xFFFFFFFFFFFFFFFF             // to restore all threads active
s_or_saveexec_b64 vcc, s[10:11]                    // all threads active
s_branch label_0052                                // done shifting


/******************************************/
/* shift d0 r=3 mb=3 vw0                  */
/******************************************/
label_0049: // r3 mb3 vw0 
s_mov_b32 s10, 24                                  // 
_v_cmpx_eq_u32 s[10:11], v4, s10                   // is thread in edge glvw region
v_and_b32 v0, 63, v[vgprSerial]                    // permute register between threads
v_lshlrev_b32 v0, 2, v0                            // permute register between threads
v_accvgpr_read_b32 v5, acc48                       // glvw 3 mb 3 tt1 0 r 0
s_nop 1                                            // v_accvgpr read vgpr after write vgpr: 2 wait states
ds_bpermute_b32 v5, v0, v5, offset:4               // permute edge values
s_waitcnt 0                                        // wait for swizzle operation
v_accvgpr_write_b32 acc48, v5                      // 
v_accvgpr_read_b32 v5, acc49                       // glvw 3 mb 3 tt1 1 r 0
s_nop 1                                            // v_accvgpr read vgpr after write vgpr: 2 wait states
ds_bpermute_b32 v5, v0, v5, offset:4               // permute edge values
s_waitcnt 0                                        // wait for swizzle operation
v_accvgpr_write_b32 acc49, v5                      // 
v_accvgpr_read_b32 v5, acc50                       // glvw 3 mb 3 tt1 2 r 0
s_nop 1                                            // v_accvgpr read vgpr after write vgpr: 2 wait states
ds_bpermute_b32 v5, v0, v5, offset:4               // permute edge values
s_waitcnt 0                                        // wait for swizzle operation
v_accvgpr_write_b32 acc50, v5                      // 
v_accvgpr_read_b32 v5, acc51                       // glvw 3 mb 3 tt1 3 r 0
s_nop 1                                            // v_accvgpr read vgpr after write vgpr: 2 wait states
ds_bpermute_b32 v5, v0, v5, offset:4               // permute edge values
s_waitcnt 0                                        // wait for swizzle operation
v_accvgpr_write_b32 acc51, v5                      // 
v_accvgpr_read_b32 v5, acc52                       // glvw 3 mb 3 tt1 4 r 0
s_nop 1                                            // v_accvgpr read vgpr after write vgpr: 2 wait states
ds_bpermute_b32 v5, v0, v5, offset:4               // permute edge values
s_waitcnt 0                                        // wait for swizzle operation
v_accvgpr_write_b32 acc52, v5                      // 
v_accvgpr_read_b32 v5, acc53                       // glvw 3 mb 3 tt1 5 r 0
s_nop 1                                            // v_accvgpr read vgpr after write vgpr: 2 wait states
ds_bpermute_b32 v5, v0, v5, offset:4               // permute edge values
s_waitcnt 0                                        // wait for swizzle operation
v_accvgpr_write_b32 acc53, v5                      // 
v_accvgpr_read_b32 v5, acc54                       // glvw 3 mb 3 tt1 6 r 0
s_nop 1                                            // v_accvgpr read vgpr after write vgpr: 2 wait states
ds_bpermute_b32 v5, v0, v5, offset:4               // permute edge values
s_waitcnt 0                                        // wait for swizzle operation
v_accvgpr_write_b32 acc54, v5                      // 
v_accvgpr_read_b32 v5, acc55                       // glvw 3 mb 3 tt1 7 r 0
s_nop 1                                            // v_accvgpr read vgpr after write vgpr: 2 wait states
ds_bpermute_b32 v5, v0, v5, offset:4               // permute edge values
s_waitcnt 0                                        // wait for swizzle operation
v_accvgpr_write_b32 acc55, v5                      // 
v_accvgpr_read_b32 v5, acc56                       // glvw 3 mb 3 tt1 8 r 0
s_nop 1                                            // v_accvgpr read vgpr after write vgpr: 2 wait states
ds_bpermute_b32 v5, v0, v5, offset:4               // permute edge values
s_waitcnt 0                                        // wait for swizzle operation
v_accvgpr_write_b32 acc56, v5                      // 
v_accvgpr_read_b32 v5, acc57                       // glvw 3 mb 3 tt1 9 r 0
s_nop 1                                            // v_accvgpr read vgpr after write vgpr: 2 wait states
ds_bpermute_b32 v5, v0, v5, offset:4               // permute edge values
s_waitcnt 0                                        // wait for swizzle operation
v_accvgpr_write_b32 acc57, v5                      // 
v_accvgpr_read_b32 v5, acc58                       // glvw 3 mb 3 tt1 10 r 0
s_nop 1                                            // v_accvgpr read vgpr after write vgpr: 2 wait states
ds_bpermute_b32 v5, v0, v5, offset:4               // permute edge values
s_waitcnt 0                                        // wait for swizzle operation
v_accvgpr_write_b32 acc58, v5                      // 
v_accvgpr_read_b32 v5, acc59                       // glvw 3 mb 3 tt1 11 r 0
s_nop 1                                            // v_accvgpr read vgpr after write vgpr: 2 wait states
ds_bpermute_b32 v5, v0, v5, offset:4               // permute edge values
s_waitcnt 0                                        // wait for swizzle operation
v_accvgpr_write_b32 acc59, v5                      // 
v_accvgpr_read_b32 v5, acc60                       // glvw 3 mb 3 tt1 12 r 0
s_nop 1                                            // v_accvgpr read vgpr after write vgpr: 2 wait states
ds_bpermute_b32 v5, v0, v5, offset:4               // permute edge values
s_waitcnt 0                                        // wait for swizzle operation
v_accvgpr_write_b32 acc60, v5                      // 
v_accvgpr_read_b32 v5, acc61                       // glvw 3 mb 3 tt1 13 r 0
s_nop 1                                            // v_accvgpr read vgpr after write vgpr: 2 wait states
ds_bpermute_b32 v5, v0, v5, offset:4               // permute edge values
s_waitcnt 0                                        // wait for swizzle operation
v_accvgpr_write_b32 acc61, v5                      // 
v_accvgpr_read_b32 v5, acc62                       // glvw 3 mb 3 tt1 14 r 0
s_nop 1                                            // v_accvgpr read vgpr after write vgpr: 2 wait states
ds_bpermute_b32 v5, v0, v5, offset:4               // permute edge values
s_waitcnt 0                                        // wait for swizzle operation
v_accvgpr_write_b32 acc62, v5                      // 
v_accvgpr_read_b32 v5, acc63                       // glvw 3 mb 3 tt1 15 r 0
s_nop 1                                            // v_accvgpr read vgpr after write vgpr: 2 wait states
ds_bpermute_b32 v5, v0, v5, offset:4               // permute edge values
s_waitcnt 0                                        // wait for swizzle operation
v_accvgpr_write_b32 acc63, v5                      // 
s_mov_b64 s[10:11], 0xFFFFFFFFFFFFFFFF             // to restore all threads active
s_or_saveexec_b64 vcc, s[10:11]                    // all threads active
s_branch label_0052                                // done shifting


/******************************************/
/* shift d0 r=3 mb=4 vw0                  */
/******************************************/
label_0051: // r3 mb4 vw0 
s_mov_b32 s10, 32                                  // 
_v_cmpx_eq_u32 s[10:11], v4, s10                   // is thread in edge glvw region
v_and_b32 v0, 63, v[vgprSerial]                    // permute register between threads
v_lshlrev_b32 v0, 2, v0                            // permute register between threads
v_accvgpr_read_b32 v5, acc64                       // glvw 3 mb 4 tt1 0 r 0
s_nop 1                                            // v_accvgpr read vgpr after write vgpr: 2 wait states
ds_bpermute_b32 v5, v0, v5, offset:4               // permute edge values
s_waitcnt 0                                        // wait for swizzle operation
v_accvgpr_write_b32 acc64, v5                      // 
v_accvgpr_read_b32 v5, acc65                       // glvw 3 mb 4 tt1 1 r 0
s_nop 1                                            // v_accvgpr read vgpr after write vgpr: 2 wait states
ds_bpermute_b32 v5, v0, v5, offset:4               // permute edge values
s_waitcnt 0                                        // wait for swizzle operation
v_accvgpr_write_b32 acc65, v5                      // 
v_accvgpr_read_b32 v5, acc66                       // glvw 3 mb 4 tt1 2 r 0
s_nop 1                                            // v_accvgpr read vgpr after write vgpr: 2 wait states
ds_bpermute_b32 v5, v0, v5, offset:4               // permute edge values
s_waitcnt 0                                        // wait for swizzle operation
v_accvgpr_write_b32 acc66, v5                      // 
v_accvgpr_read_b32 v5, acc67                       // glvw 3 mb 4 tt1 3 r 0
s_nop 1                                            // v_accvgpr read vgpr after write vgpr: 2 wait states
ds_bpermute_b32 v5, v0, v5, offset:4               // permute edge values
s_waitcnt 0                                        // wait for swizzle operation
v_accvgpr_write_b32 acc67, v5                      // 
v_accvgpr_read_b32 v5, acc68                       // glvw 3 mb 4 tt1 4 r 0
s_nop 1                                            // v_accvgpr read vgpr after write vgpr: 2 wait states
ds_bpermute_b32 v5, v0, v5, offset:4               // permute edge values
s_waitcnt 0                                        // wait for swizzle operation
v_accvgpr_write_b32 acc68, v5                      // 
v_accvgpr_read_b32 v5, acc69                       // glvw 3 mb 4 tt1 5 r 0
s_nop 1                                            // v_accvgpr read vgpr after write vgpr: 2 wait states
ds_bpermute_b32 v5, v0, v5, offset:4               // permute edge values
s_waitcnt 0                                        // wait for swizzle operation
v_accvgpr_write_b32 acc69, v5                      // 
v_accvgpr_read_b32 v5, acc70                       // glvw 3 mb 4 tt1 6 r 0
s_nop 1                                            // v_accvgpr read vgpr after write vgpr: 2 wait states
ds_bpermute_b32 v5, v0, v5, offset:4               // permute edge values
s_waitcnt 0                                        // wait for swizzle operation
v_accvgpr_write_b32 acc70, v5                      // 
v_accvgpr_read_b32 v5, acc71                       // glvw 3 mb 4 tt1 7 r 0
s_nop 1                                            // v_accvgpr read vgpr after write vgpr: 2 wait states
ds_bpermute_b32 v5, v0, v5, offset:4               // permute edge values
s_waitcnt 0                                        // wait for swizzle operation
v_accvgpr_write_b32 acc71, v5                      // 
v_accvgpr_read_b32 v5, acc72                       // glvw 3 mb 4 tt1 8 r 0
s_nop 1                                            // v_accvgpr read vgpr after write vgpr: 2 wait states
ds_bpermute_b32 v5, v0, v5, offset:4               // permute edge values
s_waitcnt 0                                        // wait for swizzle operation
v_accvgpr_write_b32 acc72, v5                      // 
v_accvgpr_read_b32 v5, acc73                       // glvw 3 mb 4 tt1 9 r 0
s_nop 1                                            // v_accvgpr read vgpr after write vgpr: 2 wait states
ds_bpermute_b32 v5, v0, v5, offset:4               // permute edge values
s_waitcnt 0                                        // wait for swizzle operation
v_accvgpr_write_b32 acc73, v5                      // 
v_accvgpr_read_b32 v5, acc74                       // glvw 3 mb 4 tt1 10 r 0
s_nop 1                                            // v_accvgpr read vgpr after write vgpr: 2 wait states
ds_bpermute_b32 v5, v0, v5, offset:4               // permute edge values
s_waitcnt 0                                        // wait for swizzle operation
v_accvgpr_write_b32 acc74, v5                      // 
v_accvgpr_read_b32 v5, acc75                       // glvw 3 mb 4 tt1 11 r 0
s_nop 1                                            // v_accvgpr read vgpr after write vgpr: 2 wait states
ds_bpermute_b32 v5, v0, v5, offset:4               // permute edge values
s_waitcnt 0                                        // wait for swizzle operation
v_accvgpr_write_b32 acc75, v5                      // 
v_accvgpr_read_b32 v5, acc76                       // glvw 3 mb 4 tt1 12 r 0
s_nop 1                                            // v_accvgpr read vgpr after write vgpr: 2 wait states
ds_bpermute_b32 v5, v0, v5, offset:4               // permute edge values
s_waitcnt 0                                        // wait for swizzle operation
v_accvgpr_write_b32 acc76, v5                      // 
v_accvgpr_read_b32 v5, acc77                       // glvw 3 mb 4 tt1 13 r 0
s_nop 1                                            // v_accvgpr read vgpr after write vgpr: 2 wait states
ds_bpermute_b32 v5, v0, v5, offset:4               // permute edge values
s_waitcnt 0                                        // wait for swizzle operation
v_accvgpr_write_b32 acc77, v5                      // 
v_accvgpr_read_b32 v5, acc78                       // glvw 3 mb 4 tt1 14 r 0
s_nop 1                                            // v_accvgpr read vgpr after write vgpr: 2 wait states
ds_bpermute_b32 v5, v0, v5, offset:4               // permute edge values
s_waitcnt 0                                        // wait for swizzle operation
v_accvgpr_write_b32 acc78, v5                      // 
v_accvgpr_read_b32 v5, acc79                       // glvw 3 mb 4 tt1 15 r 0
s_nop 1                                            // v_accvgpr read vgpr after write vgpr: 2 wait states
ds_bpermute_b32 v5, v0, v5, offset:4               // permute edge values
s_waitcnt 0                                        // wait for swizzle operation
v_accvgpr_write_b32 acc79, v5                      // 
s_mov_b64 s[10:11], 0xFFFFFFFFFFFFFFFF             // to restore all threads active
s_or_saveexec_b64 vcc, s[10:11]                    // all threads active
s_branch label_0052                                // done shifting

label_0052: // end shift0


	;; [unrolled: 1-line block ×3, first 2 shown]
/* not-LocalSplitU: global write indices */

/* computeStoreVgprs */
v_lshrrev_b32 v4, 6, v[vgprSerial]                 // v4 = v[vgprSerial] / 64
v_and_b32 v1, 63, v[vgprSerial]                    // v1 = v[vgprSerial] % 64
v_lshrrev_b32 v1, 5, v1                            // v1 = v1 / 32
v_lshlrev_b32 v1, 0x2, v1                          // thread0 * continuous_output
v_lshrrev_b32 v5, 0, v4                            // v5 = v4 / 1
v_mul_lo_u32 v5, 0x20, v5                          // wave coordination offset 1
_v_add_lshl_u32 v1, v5, v1, 0                      // coordination 1 = vwb *(wave_id1 + tid1)
v_mul_lo_u32 v2, v1, s[sgprStrideC1J]              //  offset 1
v_mul_lo_u32 v3, v1, s[sgprStrideD1J]              //  offset 1
v_and_b32 v5, 0, v4                                // v5 = v4 % 1
v_and_b32 v0, 31, v[vgprSerial]                    // v0 = v[vgprSerial] % 32
_v_add_lshl_u32 v0, v5, v0, 0                      // coordination 0 = vwa *(wave_id0 + tid0)
s_mul_i32 s10, 160, s[sgprWorkGroup0]              // wgp0 * MT0
_v_add_u32 v0, s10, v0                             // coord 0 = (tid0/MI_m)*4 + waveG0*MIB_m + MT0*SG0
s_mul_i32 s10, 128, s[sgprWorkGroup1]              // wgp1 * MT1
_v_add_u32 v1, s10, v1                             // coord 1 = (tid0%MI_m) + waveG1*MIB_n + MT1*SG1


/* not-LocalSplitU: global write */

s_mov_b32 s61, 0x0                                 // STATIC_DIV: divisior=160
s_mul_i32 s60, 0x333, s[sgprSizeI]                 // tmp1 = dividend * magic hi
s_lshl_b64 s[60:61], s[60:61], 0x10                // left shift 16 bits
s_mul_i32 s59, s[sgprSizeI], 0x3334                // tmp0 = dividend * magic lo
s_add_u32 s60, s59, s60                            // add lo
s_addc_u32 s61, s61, 0x0                           // add hi
s_lshr_b64 s[60:61], s[60:61], 0x21                // tmp1 = (dividend * magic) << shift
s_mov_b32 s59, s60                                 // quotient
s_mul_i32 s60, s59, 0xa0                           // quotient*divisor
s_sub_u32 s58, s[sgprSizeI], s60                   // rReg = dividend - quotient*divisor
s_add_u32 s59, -0x1, s[sgprNumWorkGroups0]         // 
s_cmp_ge_u32 s[sgprWorkGroup0], s59                // wg0 >= nwg0-1 ?
s_cselect_b32 s58, s58, 0                          // set rMT0
s_cmpk_gt_u32 s58, 0x0                             // rMT0 > 0
s_cbranch_scc1 GW_B0_E1_68                         // jump if edges required
s_and_b32 s58, 127, s[sgprSizeJ]                   // s58 = s[sgprSizeJ] % 128
s_add_u32 s59, -0x1, s[sgprNumWorkGroups1]         // 
s_cmp_ge_u32 s[sgprWorkGroup1], s59                // wg1 >= nwg1-1
s_cselect_b32 s58, s58, 0                          // set rMT1
s_cmpk_gt_u32 s58, 0x0                             // rMT1 > 0
s_cbranch_scc1 GW_B0_E1_68                         // jump if edges required
GW_B0_E0_65:

/* edge=0, allocate 2 sgpr. perBatchTmpS=2 perBatchMaskS=0 perElementMaskS=0 elementsPerBatch=242 */
/* optSingleColVgpr=1 optSharedColVgpr=0 optSGPRUsage=BufferLoad_Mask optSrdIncForRow=1 */

/******************************************/
/* Global Write Alpha Batch #0 (d1,d0,vc1,vc0) = */
/*    (0,0,0,0:vw1); (0,1,0,0:vw1); (0,2,0,0:vw1); (0,3,0,0:vw1); (0,4,0,0:vw1); (0,0,1,0:vw1); (0,1,1,0:vw1); (0,2,1,0:vw1); (0,3,1,0:vw1); (0,4,1,0:vw1); (0,0,2,0:vw1); (0,1,2,0:vw1); (0,2,2,0:vw1); (0,3,2,0:vw1); (0,4,2,0:vw1); (0,0,3,0:vw1); (0,1,3,0:vw1); (0,2,3,0:vw1); (0,3,3,0:vw1); (0,4,3,0:vw1); (1,0,0,0:vw1); (1,1,0,0:vw1); (1,2,0,0:vw1); (1,3,0,0:vw1); (1,4,0,0:vw1); (1,0,1,0:vw1); (1,1,1,0:vw1); (1,2,1,0:vw1); (1,3,1,0:vw1); (1,4,1,0:vw1); (1,0,2,0:vw1); (1,1,2,0:vw1); (1,2,2,0:vw1); (1,3,2,0:vw1); (1,4,2,0:vw1); (1,0,3,0:vw1); (1,1,3,0:vw1); (1,2,3,0:vw1); (1,3,3,0:vw1); (1,4,3,0:vw1); (2,0,0,0:vw1); (2,1,0,0:vw1); (2,2,0,0:vw1); (2,3,0,0:vw1); (2,4,0,0:vw1); (2,0,1,0:vw1); (2,1,1,0:vw1); (2,2,1,0:vw1); (2,3,1,0:vw1); (2,4,1,0:vw1); (2,0,2,0:vw1); (2,1,2,0:vw1); (2,2,2,0:vw1); (2,3,2,0:vw1); (2,4,2,0:vw1); (2,0,3,0:vw1); (2,1,3,0:vw1); (2,2,3,0:vw1); (2,3,3,0:vw1); (2,4,3,0:vw1); (3,0,0,0:vw1); (3,1,0,0:vw1); (3,2,0,0:vw1); (3,3,0,0:vw1); (3,4,0,0:vw1); (3,0,1,0:vw1); (3,1,1,0:vw1); (3,2,1,0:vw1); (3,3,1,0:vw1); (3,4,1,0:vw1); (3,0,2,0:vw1); (3,1,2,0:vw1); (3,2,2,0:vw1); (3,3,2,0:vw1); (3,4,2,0:vw1); (3,0,3,0:vw1); (3,1,3,0:vw1); (3,2,3,0:vw1); (3,3,3,0:vw1); (3,4,3,0:vw1) */
/******************************************/

/* calc coords, apply mask, and issue loads (if necessary) */
/* (d1,vc1,d0,vc0)=(0,0,0,0) */
/* (d1,vc1,d0,vc0)=(0,0,1,0) */
	;; [unrolled: 1-line block ×80, first 2 shown]
_v_add_lshl_u32 v6, v3, v0, 0x2                    // optSingleColVgpr scaleToBpe: sharedAddrVgpr <- cinRowPtr + coord0, scaled by BPE. BSHERE:coord0=0, coord0Vgpr=0
v_accvgpr_read_b32 v[vgprValuC+8], acc0 // copy acc to vreg[0]
v_accvgpr_read_b32 v[vgprValuC+9], acc16 // copy acc to vreg[1]
v_accvgpr_read_b32 v[vgprValuC+10], acc32 // copy acc to vreg[2]
v_accvgpr_read_b32 v[vgprValuC+11], acc48 // copy acc to vreg[3]
v_accvgpr_read_b32 v[vgprValuC+12], acc64 // copy acc to vreg[4]
v_accvgpr_read_b32 v[vgprValuC+13], acc1 // copy acc to vreg[5]
v_accvgpr_read_b32 v[vgprValuC+14], acc17 // copy acc to vreg[6]
v_accvgpr_read_b32 v[vgprValuC+15], acc33 // copy acc to vreg[7]
v_accvgpr_read_b32 v[vgprValuC+16], acc49 // copy acc to vreg[8]
v_accvgpr_read_b32 v[vgprValuC+17], acc65 // copy acc to vreg[9]
v_accvgpr_read_b32 v[vgprValuC+18], acc2 // copy acc to vreg[10]
v_accvgpr_read_b32 v[vgprValuC+19], acc18 // copy acc to vreg[11]
v_accvgpr_read_b32 v[vgprValuC+20], acc34 // copy acc to vreg[12]
v_accvgpr_read_b32 v[vgprValuC+21], acc50 // copy acc to vreg[13]
v_accvgpr_read_b32 v[vgprValuC+22], acc66 // copy acc to vreg[14]
v_accvgpr_read_b32 v[vgprValuC+23], acc3 // copy acc to vreg[15]
v_accvgpr_read_b32 v[vgprValuC+24], acc19 // copy acc to vreg[16]
v_accvgpr_read_b32 v[vgprValuC+25], acc35 // copy acc to vreg[17]
v_accvgpr_read_b32 v[vgprValuC+26], acc51 // copy acc to vreg[18]
v_accvgpr_read_b32 v[vgprValuC+27], acc67 // copy acc to vreg[19]
v_accvgpr_read_b32 v[vgprValuC+28], acc4 // copy acc to vreg[20]
v_accvgpr_read_b32 v[vgprValuC+29], acc20 // copy acc to vreg[21]
v_accvgpr_read_b32 v[vgprValuC+30], acc36 // copy acc to vreg[22]
v_accvgpr_read_b32 v[vgprValuC+31], acc52 // copy acc to vreg[23]
v_accvgpr_read_b32 v[vgprValuC+32], acc68 // copy acc to vreg[24]
v_accvgpr_read_b32 v[vgprValuC+33], acc5 // copy acc to vreg[25]
v_accvgpr_read_b32 v[vgprValuC+34], acc21 // copy acc to vreg[26]
v_accvgpr_read_b32 v[vgprValuC+35], acc37 // copy acc to vreg[27]
v_accvgpr_read_b32 v[vgprValuC+36], acc53 // copy acc to vreg[28]
v_accvgpr_read_b32 v[vgprValuC+37], acc69 // copy acc to vreg[29]
v_accvgpr_read_b32 v[vgprValuC+38], acc6 // copy acc to vreg[30]
v_accvgpr_read_b32 v[vgprValuC+39], acc22 // copy acc to vreg[31]
v_accvgpr_read_b32 v[vgprValuC+40], acc38 // copy acc to vreg[32]
v_accvgpr_read_b32 v[vgprValuC+41], acc54 // copy acc to vreg[33]
v_accvgpr_read_b32 v[vgprValuC+42], acc70 // copy acc to vreg[34]
v_accvgpr_read_b32 v[vgprValuC+43], acc7 // copy acc to vreg[35]
v_accvgpr_read_b32 v[vgprValuC+44], acc23 // copy acc to vreg[36]
v_accvgpr_read_b32 v[vgprValuC+45], acc39 // copy acc to vreg[37]
v_accvgpr_read_b32 v[vgprValuC+46], acc55 // copy acc to vreg[38]
v_accvgpr_read_b32 v[vgprValuC+47], acc71 // copy acc to vreg[39]
v_accvgpr_read_b32 v[vgprValuC+48], acc8 // copy acc to vreg[40]
v_accvgpr_read_b32 v[vgprValuC+49], acc24 // copy acc to vreg[41]
v_accvgpr_read_b32 v[vgprValuC+50], acc40 // copy acc to vreg[42]
v_accvgpr_read_b32 v[vgprValuC+51], acc56 // copy acc to vreg[43]
v_accvgpr_read_b32 v[vgprValuC+52], acc72 // copy acc to vreg[44]
v_accvgpr_read_b32 v[vgprValuC+53], acc9 // copy acc to vreg[45]
v_accvgpr_read_b32 v[vgprValuC+54], acc25 // copy acc to vreg[46]
v_accvgpr_read_b32 v[vgprValuC+55], acc41 // copy acc to vreg[47]
v_accvgpr_read_b32 v[vgprValuC+56], acc57 // copy acc to vreg[48]
v_accvgpr_read_b32 v[vgprValuC+57], acc73 // copy acc to vreg[49]
v_accvgpr_read_b32 v[vgprValuC+58], acc10 // copy acc to vreg[50]
v_accvgpr_read_b32 v[vgprValuC+59], acc26 // copy acc to vreg[51]
v_accvgpr_read_b32 v[vgprValuC+60], acc42 // copy acc to vreg[52]
v_accvgpr_read_b32 v[vgprValuC+61], acc58 // copy acc to vreg[53]
v_accvgpr_read_b32 v[vgprValuC+62], acc74 // copy acc to vreg[54]
v_accvgpr_read_b32 v[vgprValuC+63], acc11 // copy acc to vreg[55]
v_accvgpr_read_b32 v[vgprValuC+64], acc27 // copy acc to vreg[56]
v_accvgpr_read_b32 v[vgprValuC+65], acc43 // copy acc to vreg[57]
v_accvgpr_read_b32 v[vgprValuC+66], acc59 // copy acc to vreg[58]
v_accvgpr_read_b32 v[vgprValuC+67], acc75 // copy acc to vreg[59]
v_accvgpr_read_b32 v[vgprValuC+68], acc12 // copy acc to vreg[60]
v_accvgpr_read_b32 v[vgprValuC+69], acc28 // copy acc to vreg[61]
v_accvgpr_read_b32 v[vgprValuC+70], acc44 // copy acc to vreg[62]
v_accvgpr_read_b32 v[vgprValuC+71], acc60 // copy acc to vreg[63]
v_accvgpr_read_b32 v[vgprValuC+72], acc76 // copy acc to vreg[64]
v_accvgpr_read_b32 v[vgprValuC+73], acc13 // copy acc to vreg[65]
v_accvgpr_read_b32 v[vgprValuC+74], acc29 // copy acc to vreg[66]
v_accvgpr_read_b32 v[vgprValuC+75], acc45 // copy acc to vreg[67]
v_accvgpr_read_b32 v[vgprValuC+76], acc61 // copy acc to vreg[68]
v_accvgpr_read_b32 v[vgprValuC+77], acc77 // copy acc to vreg[69]
v_accvgpr_read_b32 v[vgprValuC+84], acc14 // copy acc to vreg[70]
v_accvgpr_read_b32 v[vgprValuC+85], acc30 // copy acc to vreg[71]
v_accvgpr_read_b32 v[vgprValuC+86], acc46 // copy acc to vreg[72]
v_accvgpr_read_b32 v[vgprValuC+87], acc62 // copy acc to vreg[73]
v_accvgpr_read_b32 v[vgprValuC+88], acc78 // copy acc to vreg[74]
v_accvgpr_read_b32 v[vgprValuC+89], acc15 // copy acc to vreg[75]
v_accvgpr_read_b32 v[vgprValuC+90], acc31 // copy acc to vreg[76]
v_accvgpr_read_b32 v[vgprValuC+91], acc47 // copy acc to vreg[77]
v_accvgpr_read_b32 v[vgprValuC+92], acc63 // copy acc to vreg[78]
v_accvgpr_read_b32 v[vgprValuC+93], acc79 // copy acc to vreg[79]
s_nop 1                                            // 2 wait states required before reading vgpr

/* rC *= alpha batchElements=[(0, 0, 0, 0), (0, 1, 0, 0), (0, 2, 0, 0), (0, 3, 0, 0), (0, 4, 0, 0), (0, 0, 1, 0), (0, 1, 1, 0), (0, 2, 1, 0), (0, 3, 1, 0), (0, 4, 1, 0), (0, 0, 2, 0), (0, 1, 2, 0), (0, 2, 2, 0), (0, 3, 2, 0), (0, 4, 2, 0), (0, 0, 3, 0), (0, 1, 3, 0), (0, 2, 3, 0), (0, 3, 3, 0), (0, 4, 3, 0), (1, 0, 0, 0), (1, 1, 0, 0), (1, 2, 0, 0), (1, 3, 0, 0), (1, 4, 0, 0), (1, 0, 1, 0), (1, 1, 1, 0), (1, 2, 1, 0), (1, 3, 1, 0), (1, 4, 1, 0), (1, 0, 2, 0), (1, 1, 2, 0), (1, 2, 2, 0), (1, 3, 2, 0), (1, 4, 2, 0), (1, 0, 3, 0), (1, 1, 3, 0), (1, 2, 3, 0), (1, 3, 3, 0), (1, 4, 3, 0), (2, 0, 0, 0), (2, 1, 0, 0), (2, 2, 0, 0), (2, 3, 0, 0), (2, 4, 0, 0), (2, 0, 1, 0), (2, 1, 1, 0), (2, 2, 1, 0), (2, 3, 1, 0), (2, 4, 1, 0), (2, 0, 2, 0), (2, 1, 2, 0), (2, 2, 2, 0), (2, 3, 2, 0), (2, 4, 2, 0), (2, 0, 3, 0), (2, 1, 3, 0), (2, 2, 3, 0), (2, 3, 3, 0), (2, 4, 3, 0), (3, 0, 0, 0), (3, 1, 0, 0), (3, 2, 0, 0), (3, 3, 0, 0), (3, 4, 0, 0), (3, 0, 1, 0), (3, 1, 1, 0), (3, 2, 1, 0), (3, 3, 1, 0), (3, 4, 1, 0), (3, 0, 2, 0), (3, 1, 2, 0), (3, 2, 2, 0), (3, 3, 2, 0), (3, 4, 2, 0), (3, 0, 3, 0), (3, 1, 3, 0), (3, 2, 3, 0), (3, 3, 3, 0), (3, 4, 3, 0)] */

/* apply mask, calc new C and issue writes */
_buffer_store_b32 v8, v6, s[sgprSrdD:sgprSrdD+3], 0, offen, offset:0 // store D
_buffer_store_b32 v9, v6, s[sgprSrdD:sgprSrdD+3], 0, offen, offset:128 // store D
_buffer_store_b32 v10, v6, s[sgprSrdD:sgprSrdD+3], 0, offen, offset:256 // store D
_buffer_store_b32 v11, v6, s[sgprSrdD:sgprSrdD+3], 0, offen, offset:384 // store D
_buffer_store_b32 v12, v6, s[sgprSrdD:sgprSrdD+3], 0, offen, offset:512 // store D
s_lshl_b32  s10, s[sgprStrideD1J], 2               // incToNextRow: Scale by BPE
s_add_u32  s[sgprSrdD+0], s[sgprSrdD+0], s10       // incToNextRow: gra SRD += inc(lower)
s_addc_u32  s[sgprSrdD+1], s[sgprSrdD+1], 0        // incToNextRow: gra SRD += inc(upper)
_buffer_store_b32 v13, v6, s[sgprSrdD:sgprSrdD+3], 0, offen, offset:0 // store D
_buffer_store_b32 v14, v6, s[sgprSrdD:sgprSrdD+3], 0, offen, offset:128 // store D
_buffer_store_b32 v15, v6, s[sgprSrdD:sgprSrdD+3], 0, offen, offset:256 // store D
_buffer_store_b32 v16, v6, s[sgprSrdD:sgprSrdD+3], 0, offen, offset:384 // store D
_buffer_store_b32 v17, v6, s[sgprSrdD:sgprSrdD+3], 0, offen, offset:512 // store D
s_lshl_b32  s10, s[sgprStrideD1J], 2               // incToNextRow: Scale by BPE
s_add_u32  s[sgprSrdD+0], s[sgprSrdD+0], s10       // incToNextRow: gra SRD += inc(lower)
s_addc_u32  s[sgprSrdD+1], s[sgprSrdD+1], 0        // incToNextRow: gra SRD += inc(upper)
_buffer_store_b32 v18, v6, s[sgprSrdD:sgprSrdD+3], 0, offen, offset:0 // store D
_buffer_store_b32 v19, v6, s[sgprSrdD:sgprSrdD+3], 0, offen, offset:128 // store D
_buffer_store_b32 v20, v6, s[sgprSrdD:sgprSrdD+3], 0, offen, offset:256 // store D
_buffer_store_b32 v21, v6, s[sgprSrdD:sgprSrdD+3], 0, offen, offset:384 // store D
_buffer_store_b32 v22, v6, s[sgprSrdD:sgprSrdD+3], 0, offen, offset:512 // store D
s_lshl_b32  s10, s[sgprStrideD1J], 2               // incToNextRow: Scale by BPE
s_add_u32  s[sgprSrdD+0], s[sgprSrdD+0], s10       // incToNextRow: gra SRD += inc(lower)
s_addc_u32  s[sgprSrdD+1], s[sgprSrdD+1], 0        // incToNextRow: gra SRD += inc(upper)
_buffer_store_b32 v23, v6, s[sgprSrdD:sgprSrdD+3], 0, offen, offset:0 // store D
_buffer_store_b32 v24, v6, s[sgprSrdD:sgprSrdD+3], 0, offen, offset:128 // store D
_buffer_store_b32 v25, v6, s[sgprSrdD:sgprSrdD+3], 0, offen, offset:256 // store D
_buffer_store_b32 v26, v6, s[sgprSrdD:sgprSrdD+3], 0, offen, offset:384 // store D
_buffer_store_b32 v27, v6, s[sgprSrdD:sgprSrdD+3], 0, offen, offset:512 // store D
s_mul_i32 s10, s[sgprStrideD1J], 20                // scale StrideD *= numRows(5) * bpe
s_add_u32  s[sgprSrdD+0], s[sgprSrdD+0], s10       // incToNextRow: gra SRD += inc(lower)
s_addc_u32  s[sgprSrdD+1], s[sgprSrdD+1], 0        // incToNextRow: gra SRD += inc(upper)
_buffer_store_b32 v28, v6, s[sgprSrdD:sgprSrdD+3], 0, offen, offset:0 // store D
_buffer_store_b32 v29, v6, s[sgprSrdD:sgprSrdD+3], 0, offen, offset:128 // store D
_buffer_store_b32 v30, v6, s[sgprSrdD:sgprSrdD+3], 0, offen, offset:256 // store D
_buffer_store_b32 v31, v6, s[sgprSrdD:sgprSrdD+3], 0, offen, offset:384 // store D
_buffer_store_b32 v32, v6, s[sgprSrdD:sgprSrdD+3], 0, offen, offset:512 // store D
s_lshl_b32  s10, s[sgprStrideD1J], 2               // incToNextRow: Scale by BPE
s_add_u32  s[sgprSrdD+0], s[sgprSrdD+0], s10       // incToNextRow: gra SRD += inc(lower)
s_addc_u32  s[sgprSrdD+1], s[sgprSrdD+1], 0        // incToNextRow: gra SRD += inc(upper)
_buffer_store_b32 v33, v6, s[sgprSrdD:sgprSrdD+3], 0, offen, offset:0 // store D
_buffer_store_b32 v34, v6, s[sgprSrdD:sgprSrdD+3], 0, offen, offset:128 // store D
_buffer_store_b32 v35, v6, s[sgprSrdD:sgprSrdD+3], 0, offen, offset:256 // store D
_buffer_store_b32 v36, v6, s[sgprSrdD:sgprSrdD+3], 0, offen, offset:384 // store D
_buffer_store_b32 v37, v6, s[sgprSrdD:sgprSrdD+3], 0, offen, offset:512 // store D
s_lshl_b32  s10, s[sgprStrideD1J], 2               // incToNextRow: Scale by BPE
s_add_u32  s[sgprSrdD+0], s[sgprSrdD+0], s10       // incToNextRow: gra SRD += inc(lower)
s_addc_u32  s[sgprSrdD+1], s[sgprSrdD+1], 0        // incToNextRow: gra SRD += inc(upper)
_buffer_store_b32 v38, v6, s[sgprSrdD:sgprSrdD+3], 0, offen, offset:0 // store D
_buffer_store_b32 v39, v6, s[sgprSrdD:sgprSrdD+3], 0, offen, offset:128 // store D
_buffer_store_b32 v40, v6, s[sgprSrdD:sgprSrdD+3], 0, offen, offset:256 // store D
_buffer_store_b32 v41, v6, s[sgprSrdD:sgprSrdD+3], 0, offen, offset:384 // store D
_buffer_store_b32 v42, v6, s[sgprSrdD:sgprSrdD+3], 0, offen, offset:512 // store D
s_lshl_b32  s10, s[sgprStrideD1J], 2               // incToNextRow: Scale by BPE
s_add_u32  s[sgprSrdD+0], s[sgprSrdD+0], s10       // incToNextRow: gra SRD += inc(lower)
s_addc_u32  s[sgprSrdD+1], s[sgprSrdD+1], 0        // incToNextRow: gra SRD += inc(upper)
_buffer_store_b32 v43, v6, s[sgprSrdD:sgprSrdD+3], 0, offen, offset:0 // store D
_buffer_store_b32 v44, v6, s[sgprSrdD:sgprSrdD+3], 0, offen, offset:128 // store D
_buffer_store_b32 v45, v6, s[sgprSrdD:sgprSrdD+3], 0, offen, offset:256 // store D
_buffer_store_b32 v46, v6, s[sgprSrdD:sgprSrdD+3], 0, offen, offset:384 // store D
_buffer_store_b32 v47, v6, s[sgprSrdD:sgprSrdD+3], 0, offen, offset:512 // store D
s_mul_i32 s10, s[sgprStrideD1J], 20                // scale StrideD *= numRows(5) * bpe
s_add_u32  s[sgprSrdD+0], s[sgprSrdD+0], s10       // incToNextRow: gra SRD += inc(lower)
s_addc_u32  s[sgprSrdD+1], s[sgprSrdD+1], 0        // incToNextRow: gra SRD += inc(upper)
	;; [unrolled: 32-line block ×3, first 2 shown]
_buffer_store_b32 v68, v6, s[sgprSrdD:sgprSrdD+3], 0, offen, offset:0 // store D
_buffer_store_b32 v69, v6, s[sgprSrdD:sgprSrdD+3], 0, offen, offset:128 // store D
_buffer_store_b32 v70, v6, s[sgprSrdD:sgprSrdD+3], 0, offen, offset:256 // store D
_buffer_store_b32 v71, v6, s[sgprSrdD:sgprSrdD+3], 0, offen, offset:384 // store D
_buffer_store_b32 v72, v6, s[sgprSrdD:sgprSrdD+3], 0, offen, offset:512 // store D
s_lshl_b32  s10, s[sgprStrideD1J], 2               // incToNextRow: Scale by BPE
s_add_u32  s[sgprSrdD+0], s[sgprSrdD+0], s10       // incToNextRow: gra SRD += inc(lower)
s_addc_u32  s[sgprSrdD+1], s[sgprSrdD+1], 0        // incToNextRow: gra SRD += inc(upper)
_buffer_store_b32 v73, v6, s[sgprSrdD:sgprSrdD+3], 0, offen, offset:0 // store D
_buffer_store_b32 v74, v6, s[sgprSrdD:sgprSrdD+3], 0, offen, offset:128 // store D
_buffer_store_b32 v75, v6, s[sgprSrdD:sgprSrdD+3], 0, offen, offset:256 // store D
_buffer_store_b32 v76, v6, s[sgprSrdD:sgprSrdD+3], 0, offen, offset:384 // store D
_buffer_store_b32 v77, v6, s[sgprSrdD:sgprSrdD+3], 0, offen, offset:512 // store D
s_lshl_b32  s10, s[sgprStrideD1J], 2               // incToNextRow: Scale by BPE
s_add_u32  s[sgprSrdD+0], s[sgprSrdD+0], s10       // incToNextRow: gra SRD += inc(lower)
s_addc_u32  s[sgprSrdD+1], s[sgprSrdD+1], 0        // incToNextRow: gra SRD += inc(upper)
	;; [unrolled: 8-line block ×3, first 2 shown]
_buffer_store_b32 v89, v6, s[sgprSrdD:sgprSrdD+3], 0, offen, offset:0 // store D
_buffer_store_b32 v90, v6, s[sgprSrdD:sgprSrdD+3], 0, offen, offset:128 // store D
	;; [unrolled: 1-line block ×5, first 2 shown]
s_nop 0                                            // 1 wait state required when next inst writes vgprs held by previous dwordx4 store inst
s_branch label_GW_End_70                           // jump to end
GW_B0_E1_68:

/* edge=1, allocate 6 sgpr. perBatchTmpS=4 perBatchMaskS=2 perElementMaskS=0 elementsPerBatch=122 */
/* optSingleColVgpr=0 optSharedColVgpr=0 optSGPRUsage=BufferLoad_Edge_Mask optSrdIncForRow=0 */

/******************************************/
/* Global Write Alpha Edge Batch #0 (d1,d0,vc1,vc0) = */
/*    (0,0,0,0:vw1); (0,1,0,0:vw1); (0,2,0,0:vw1); (0,3,0,0:vw1); (0,4,0,0:vw1); (0,0,1,0:vw1); (0,1,1,0:vw1); (0,2,1,0:vw1); (0,3,1,0:vw1); (0,4,1,0:vw1); (0,0,2,0:vw1); (0,1,2,0:vw1); (0,2,2,0:vw1); (0,3,2,0:vw1); (0,4,2,0:vw1); (0,0,3,0:vw1); (0,1,3,0:vw1); (0,2,3,0:vw1); (0,3,3,0:vw1); (0,4,3,0:vw1); (1,0,0,0:vw1); (1,1,0,0:vw1); (1,2,0,0:vw1); (1,3,0,0:vw1); (1,4,0,0:vw1); (1,0,1,0:vw1); (1,1,1,0:vw1); (1,2,1,0:vw1); (1,3,1,0:vw1); (1,4,1,0:vw1); (1,0,2,0:vw1); (1,1,2,0:vw1); (1,2,2,0:vw1); (1,3,2,0:vw1); (1,4,2,0:vw1); (1,0,3,0:vw1); (1,1,3,0:vw1); (1,2,3,0:vw1); (1,3,3,0:vw1); (1,4,3,0:vw1); (2,0,0,0:vw1); (2,1,0,0:vw1); (2,2,0,0:vw1); (2,3,0,0:vw1); (2,4,0,0:vw1); (2,0,1,0:vw1); (2,1,1,0:vw1); (2,2,1,0:vw1); (2,3,1,0:vw1); (2,4,1,0:vw1); (2,0,2,0:vw1); (2,1,2,0:vw1); (2,2,2,0:vw1); (2,3,2,0:vw1); (2,4,2,0:vw1); (2,0,3,0:vw1); (2,1,3,0:vw1); (2,2,3,0:vw1); (2,3,3,0:vw1); (2,4,3,0:vw1); (3,0,0,0:vw1); (3,1,0,0:vw1); (3,2,0,0:vw1); (3,3,0,0:vw1); (3,4,0,0:vw1); (3,0,1,0:vw1); (3,1,1,0:vw1); (3,2,1,0:vw1); (3,3,1,0:vw1); (3,4,1,0:vw1); (3,0,2,0:vw1); (3,1,2,0:vw1); (3,2,2,0:vw1); (3,3,2,0:vw1); (3,4,2,0:vw1); (3,0,3,0:vw1); (3,1,3,0:vw1); (3,2,3,0:vw1); (3,3,3,0:vw1); (3,4,3,0:vw1) */
/******************************************/

/* calc coords, apply mask, and issue loads (if necessary) */
/* (d1,vc1,d0,vc0)=(0,0,0,0) */
v_cmp_lt_u32 s[58:59], v0, s[sgprSizeI]            // coord0 < size0
v_cmp_lt_u32 s[62:63], v1, s[sgprSizeJ]            // coord1 < size1
s_and_b64 s[62:63], s[58:59], s[62:63]             // in0 && in1
_v_add_lshl_u32 v6, v3, v0, 0x2                    // scaleToBpe: accumulate d0 lower and *= bpe into Cin addr
v_cndmask_b32 v6, -1, v6, s[62:63]                 // LDD clip if OOB. offset
/* (d1,vc1,d0,vc0)=(0,0,1,0) */
_v_add_co_u32 v4, vcc, v0, 32                      // coord0.1: coord0 += d0*sg0*VW + vc0
v_cmp_lt_u32 s[58:59], v4, s[sgprSizeI]            // coord0 < size0
v_cmp_lt_u32 s[62:63], v1, s[sgprSizeJ]            // coord1 < size1
s_and_b64 s[62:63], s[58:59], s[62:63]             // in0 && in1
_v_add_lshl_u32 v8, v3, v4, 0x2                    // scaleToBpe: accumulate d0 lower and *= bpe into Cin addr
v_cndmask_b32 v8, -1, v8, s[62:63]                 // LDD clip if OOB. offset
/* (d1,vc1,d0,vc0)=(0,0,2,0) */
_v_add_co_u32 v4, vcc, v0, 64                      // coord0.1: coord0 += d0*sg0*VW + vc0
v_cmp_lt_u32 s[58:59], v4, s[sgprSizeI]            // coord0 < size0
v_cmp_lt_u32 s[62:63], v1, s[sgprSizeJ]            // coord1 < size1
s_and_b64 s[62:63], s[58:59], s[62:63]             // in0 && in1
_v_add_lshl_u32 v10, v3, v4, 0x2                   // scaleToBpe: accumulate d0 lower and *= bpe into Cin addr
v_cndmask_b32 v10, -1, v10, s[62:63]               // LDD clip if OOB. offset
/* (d1,vc1,d0,vc0)=(0,0,3,0) */
s_mov_b32 s58, 96                                  // coordOffset0 d0=3 vc0=0
_v_add_co_u32 v4, vcc, v0, s58                     // coord0.2: coord0 += d0*sg0*VW + vc0
v_cmp_lt_u32 s[58:59], v4, s[sgprSizeI]            // coord0 < size0
v_cmp_lt_u32 s[62:63], v1, s[sgprSizeJ]            // coord1 < size1
s_and_b64 s[62:63], s[58:59], s[62:63]             // in0 && in1
_v_add_lshl_u32 v12, v3, v4, 0x2                   // scaleToBpe: accumulate d0 lower and *= bpe into Cin addr
v_cndmask_b32 v12, -1, v12, s[62:63]               // LDD clip if OOB. offset
/* (d1,vc1,d0,vc0)=(0,0,4,0) */
s_mov_b32 s58, 128                                 // coordOffset0 d0=4 vc0=0
_v_add_co_u32 v4, vcc, v0, s58                     // coord0.2: coord0 += d0*sg0*VW + vc0
v_cmp_lt_u32 s[58:59], v4, s[sgprSizeI]            // coord0 < size0
v_cmp_lt_u32 s[62:63], v1, s[sgprSizeJ]            // coord1 < size1
s_and_b64 s[62:63], s[58:59], s[62:63]             // in0 && in1
_v_add_lshl_u32 v14, v3, v4, 0x2                   // scaleToBpe: accumulate d0 lower and *= bpe into Cin addr
v_cndmask_b32 v14, -1, v14, s[62:63]               // LDD clip if OOB. offset
/* (d1,vc1,d0,vc0)=(0,1,0,0) */
_v_add_co_u32 v1, vcc, v1, 1                       // coord1.1: coord1Vgpr += d1*sg1*VW + vc1

/* Fix for UseInitialStridesCD, emitAddressSetupCode */
_v_add_u32 v2, v2, s[sgprStrideC1J]                // ROWINC- Move cinRowPtr to next row
_v_add_u32 v3, v3, s[sgprStrideD1J]                // Move coutRowPtr to next row
v_cmp_lt_u32 s[58:59], v0, s[sgprSizeI]            // coord0 < size0
v_cmp_lt_u32 s[62:63], v1, s[sgprSizeJ]            // coord1 < size1
s_and_b64 s[62:63], s[58:59], s[62:63]             // in0 && in1
_v_add_lshl_u32 v16, v3, v0, 0x2                   // scaleToBpe: accumulate d0 lower and *= bpe into Cin addr
v_cndmask_b32 v16, -1, v16, s[62:63]               // LDD clip if OOB. offset
/* (d1,vc1,d0,vc0)=(0,1,1,0) */
_v_add_co_u32 v4, vcc, v0, 32                      // coord0.1: coord0 += d0*sg0*VW + vc0
v_cmp_lt_u32 s[58:59], v4, s[sgprSizeI]            // coord0 < size0
v_cmp_lt_u32 s[62:63], v1, s[sgprSizeJ]            // coord1 < size1
s_and_b64 s[62:63], s[58:59], s[62:63]             // in0 && in1
_v_add_lshl_u32 v18, v3, v4, 0x2                   // scaleToBpe: accumulate d0 lower and *= bpe into Cin addr
v_cndmask_b32 v18, -1, v18, s[62:63]               // LDD clip if OOB. offset
/* (d1,vc1,d0,vc0)=(0,1,2,0) */
_v_add_co_u32 v4, vcc, v0, 64                      // coord0.1: coord0 += d0*sg0*VW + vc0
v_cmp_lt_u32 s[58:59], v4, s[sgprSizeI]            // coord0 < size0
v_cmp_lt_u32 s[62:63], v1, s[sgprSizeJ]            // coord1 < size1
s_and_b64 s[62:63], s[58:59], s[62:63]             // in0 && in1
_v_add_lshl_u32 v20, v3, v4, 0x2                   // scaleToBpe: accumulate d0 lower and *= bpe into Cin addr
v_cndmask_b32 v20, -1, v20, s[62:63]               // LDD clip if OOB. offset
/* (d1,vc1,d0,vc0)=(0,1,3,0) */
s_mov_b32 s58, 96                                  // coordOffset0 d0=3 vc0=0
_v_add_co_u32 v4, vcc, v0, s58                     // coord0.2: coord0 += d0*sg0*VW + vc0
v_cmp_lt_u32 s[58:59], v4, s[sgprSizeI]            // coord0 < size0
v_cmp_lt_u32 s[62:63], v1, s[sgprSizeJ]            // coord1 < size1
s_and_b64 s[62:63], s[58:59], s[62:63]             // in0 && in1
_v_add_lshl_u32 v22, v3, v4, 0x2                   // scaleToBpe: accumulate d0 lower and *= bpe into Cin addr
v_cndmask_b32 v22, -1, v22, s[62:63]               // LDD clip if OOB. offset
/* (d1,vc1,d0,vc0)=(0,1,4,0) */
s_mov_b32 s58, 128                                 // coordOffset0 d0=4 vc0=0
_v_add_co_u32 v4, vcc, v0, s58                     // coord0.2: coord0 += d0*sg0*VW + vc0
v_cmp_lt_u32 s[58:59], v4, s[sgprSizeI]            // coord0 < size0
v_cmp_lt_u32 s[62:63], v1, s[sgprSizeJ]            // coord1 < size1
s_and_b64 s[62:63], s[58:59], s[62:63]             // in0 && in1
_v_add_lshl_u32 v24, v3, v4, 0x2                   // scaleToBpe: accumulate d0 lower and *= bpe into Cin addr
v_cndmask_b32 v24, -1, v24, s[62:63]               // LDD clip if OOB. offset
/* (d1,vc1,d0,vc0)=(0,2,0,0) */
_v_add_co_u32 v1, vcc, v1, 1                       // coord1.1: coord1Vgpr += d1*sg1*VW + vc1

/* Fix for UseInitialStridesCD, emitAddressSetupCode */
_v_add_u32 v2, v2, s[sgprStrideC1J]                // ROWINC- Move cinRowPtr to next row
_v_add_u32 v3, v3, s[sgprStrideD1J]                // Move coutRowPtr to next row
v_cmp_lt_u32 s[58:59], v0, s[sgprSizeI]            // coord0 < size0
v_cmp_lt_u32 s[62:63], v1, s[sgprSizeJ]            // coord1 < size1
s_and_b64 s[62:63], s[58:59], s[62:63]             // in0 && in1
_v_add_lshl_u32 v26, v3, v0, 0x2                   // scaleToBpe: accumulate d0 lower and *= bpe into Cin addr
v_cndmask_b32 v26, -1, v26, s[62:63]               // LDD clip if OOB. offset
/* (d1,vc1,d0,vc0)=(0,2,1,0) */
_v_add_co_u32 v4, vcc, v0, 32                      // coord0.1: coord0 += d0*sg0*VW + vc0
v_cmp_lt_u32 s[58:59], v4, s[sgprSizeI]            // coord0 < size0
v_cmp_lt_u32 s[62:63], v1, s[sgprSizeJ]            // coord1 < size1
s_and_b64 s[62:63], s[58:59], s[62:63]             // in0 && in1
_v_add_lshl_u32 v28, v3, v4, 0x2                   // scaleToBpe: accumulate d0 lower and *= bpe into Cin addr
v_cndmask_b32 v28, -1, v28, s[62:63]               // LDD clip if OOB. offset
	;; [unrolled: 41-line block ×3, first 2 shown]
/* (d1,vc1,d0,vc0)=(0,3,2,0) */
_v_add_co_u32 v4, vcc, v0, 64                      // coord0.1: coord0 += d0*sg0*VW + vc0
v_cmp_lt_u32 s[58:59], v4, s[sgprSizeI]            // coord0 < size0
v_cmp_lt_u32 s[62:63], v1, s[sgprSizeJ]            // coord1 < size1
s_and_b64 s[62:63], s[58:59], s[62:63]             // in0 && in1
_v_add_lshl_u32 v40, v3, v4, 0x2                   // scaleToBpe: accumulate d0 lower and *= bpe into Cin addr
v_cndmask_b32 v40, -1, v40, s[62:63]               // LDD clip if OOB. offset
/* (d1,vc1,d0,vc0)=(0,3,3,0) */
s_mov_b32 s58, 96                                  // coordOffset0 d0=3 vc0=0
_v_add_co_u32 v4, vcc, v0, s58                     // coord0.2: coord0 += d0*sg0*VW + vc0
v_cmp_lt_u32 s[58:59], v4, s[sgprSizeI]            // coord0 < size0
v_cmp_lt_u32 s[62:63], v1, s[sgprSizeJ]            // coord1 < size1
s_and_b64 s[62:63], s[58:59], s[62:63]             // in0 && in1
_v_add_lshl_u32 v42, v3, v4, 0x2                   // scaleToBpe: accumulate d0 lower and *= bpe into Cin addr
v_cndmask_b32 v42, -1, v42, s[62:63]               // LDD clip if OOB. offset
/* (d1,vc1,d0,vc0)=(0,3,4,0) */
s_mov_b32 s58, 128                                 // coordOffset0 d0=4 vc0=0
_v_add_co_u32 v4, vcc, v0, s58                     // coord0.2: coord0 += d0*sg0*VW + vc0
v_cmp_lt_u32 s[58:59], v4, s[sgprSizeI]            // coord0 < size0
v_cmp_lt_u32 s[62:63], v1, s[sgprSizeJ]            // coord1 < size1
s_and_b64 s[62:63], s[58:59], s[62:63]             // in0 && in1
_v_add_lshl_u32 v44, v3, v4, 0x2                   // scaleToBpe: accumulate d0 lower and *= bpe into Cin addr
v_cndmask_b32 v44, -1, v44, s[62:63]               // LDD clip if OOB. offset
/* (d1,vc1,d0,vc0)=(1,0,0,0) */
_v_add_co_u32 v1, vcc, v1, 5                       // coord1.1: coord1Vgpr += d1*sg1*VW + vc1

/* Fix for UseInitialStridesCD, emitAddressSetupCode */
s_mul_i32 s58, s[sgprStrideC1J], 5                 // scale stride
_v_add_u32 v2, v2, s58                             // ROWINC- Move cinRowPtr to next row
s_mul_i32 s58, s[sgprStrideD1J], 5                 // scale stride
_v_add_u32 v3, v3, s58                             // Move coutRowPtr to next row
v_cmp_lt_u32 s[58:59], v0, s[sgprSizeI]            // coord0 < size0
v_cmp_lt_u32 s[62:63], v1, s[sgprSizeJ]            // coord1 < size1
s_and_b64 s[62:63], s[58:59], s[62:63]             // in0 && in1
_v_add_lshl_u32 v46, v3, v0, 0x2                   // scaleToBpe: accumulate d0 lower and *= bpe into Cin addr
v_cndmask_b32 v46, -1, v46, s[62:63]               // LDD clip if OOB. offset
/* (d1,vc1,d0,vc0)=(1,0,1,0) */
_v_add_co_u32 v4, vcc, v0, 32                      // coord0.1: coord0 += d0*sg0*VW + vc0
v_cmp_lt_u32 s[58:59], v4, s[sgprSizeI]            // coord0 < size0
v_cmp_lt_u32 s[62:63], v1, s[sgprSizeJ]            // coord1 < size1
s_and_b64 s[62:63], s[58:59], s[62:63]             // in0 && in1
_v_add_lshl_u32 v48, v3, v4, 0x2                   // scaleToBpe: accumulate d0 lower and *= bpe into Cin addr
v_cndmask_b32 v48, -1, v48, s[62:63]               // LDD clip if OOB. offset
/* (d1,vc1,d0,vc0)=(1,0,2,0) */
_v_add_co_u32 v4, vcc, v0, 64                      // coord0.1: coord0 += d0*sg0*VW + vc0
v_cmp_lt_u32 s[58:59], v4, s[sgprSizeI]            // coord0 < size0
v_cmp_lt_u32 s[62:63], v1, s[sgprSizeJ]            // coord1 < size1
s_and_b64 s[62:63], s[58:59], s[62:63]             // in0 && in1
_v_add_lshl_u32 v50, v3, v4, 0x2                   // scaleToBpe: accumulate d0 lower and *= bpe into Cin addr
v_cndmask_b32 v50, -1, v50, s[62:63]               // LDD clip if OOB. offset
/* (d1,vc1,d0,vc0)=(1,0,3,0) */
s_mov_b32 s58, 96                                  // coordOffset0 d0=3 vc0=0
_v_add_co_u32 v4, vcc, v0, s58                     // coord0.2: coord0 += d0*sg0*VW + vc0
v_cmp_lt_u32 s[58:59], v4, s[sgprSizeI]            // coord0 < size0
v_cmp_lt_u32 s[62:63], v1, s[sgprSizeJ]            // coord1 < size1
s_and_b64 s[62:63], s[58:59], s[62:63]             // in0 && in1
_v_add_lshl_u32 v52, v3, v4, 0x2                   // scaleToBpe: accumulate d0 lower and *= bpe into Cin addr
v_cndmask_b32 v52, -1, v52, s[62:63]               // LDD clip if OOB. offset
/* (d1,vc1,d0,vc0)=(1,0,4,0) */
s_mov_b32 s58, 128                                 // coordOffset0 d0=4 vc0=0
_v_add_co_u32 v4, vcc, v0, s58                     // coord0.2: coord0 += d0*sg0*VW + vc0
v_cmp_lt_u32 s[58:59], v4, s[sgprSizeI]            // coord0 < size0
v_cmp_lt_u32 s[62:63], v1, s[sgprSizeJ]            // coord1 < size1
s_and_b64 s[62:63], s[58:59], s[62:63]             // in0 && in1
_v_add_lshl_u32 v54, v3, v4, 0x2                   // scaleToBpe: accumulate d0 lower and *= bpe into Cin addr
v_cndmask_b32 v54, -1, v54, s[62:63]               // LDD clip if OOB. offset
/* (d1,vc1,d0,vc0)=(1,1,0,0) */
_v_add_co_u32 v1, vcc, v1, 1                       // coord1.1: coord1Vgpr += d1*sg1*VW + vc1

/* Fix for UseInitialStridesCD, emitAddressSetupCode */
_v_add_u32 v2, v2, s[sgprStrideC1J]                // ROWINC- Move cinRowPtr to next row
_v_add_u32 v3, v3, s[sgprStrideD1J]                // Move coutRowPtr to next row
v_cmp_lt_u32 s[58:59], v0, s[sgprSizeI]            // coord0 < size0
v_cmp_lt_u32 s[62:63], v1, s[sgprSizeJ]            // coord1 < size1
s_and_b64 s[62:63], s[58:59], s[62:63]             // in0 && in1
_v_add_lshl_u32 v56, v3, v0, 0x2                   // scaleToBpe: accumulate d0 lower and *= bpe into Cin addr
v_cndmask_b32 v56, -1, v56, s[62:63]               // LDD clip if OOB. offset
/* (d1,vc1,d0,vc0)=(1,1,1,0) */
_v_add_co_u32 v4, vcc, v0, 32                      // coord0.1: coord0 += d0*sg0*VW + vc0
v_cmp_lt_u32 s[58:59], v4, s[sgprSizeI]            // coord0 < size0
v_cmp_lt_u32 s[62:63], v1, s[sgprSizeJ]            // coord1 < size1
s_and_b64 s[62:63], s[58:59], s[62:63]             // in0 && in1
_v_add_lshl_u32 v58, v3, v4, 0x2                   // scaleToBpe: accumulate d0 lower and *= bpe into Cin addr
v_cndmask_b32 v58, -1, v58, s[62:63]               // LDD clip if OOB. offset
/* (d1,vc1,d0,vc0)=(1,1,2,0) */
_v_add_co_u32 v4, vcc, v0, 64                      // coord0.1: coord0 += d0*sg0*VW + vc0
v_cmp_lt_u32 s[58:59], v4, s[sgprSizeI]            // coord0 < size0
v_cmp_lt_u32 s[62:63], v1, s[sgprSizeJ]            // coord1 < size1
s_and_b64 s[62:63], s[58:59], s[62:63]             // in0 && in1
_v_add_lshl_u32 v60, v3, v4, 0x2                   // scaleToBpe: accumulate d0 lower and *= bpe into Cin addr
v_cndmask_b32 v60, -1, v60, s[62:63]               // LDD clip if OOB. offset
/* (d1,vc1,d0,vc0)=(1,1,3,0) */
s_mov_b32 s58, 96                                  // coordOffset0 d0=3 vc0=0
_v_add_co_u32 v4, vcc, v0, s58                     // coord0.2: coord0 += d0*sg0*VW + vc0
v_cmp_lt_u32 s[58:59], v4, s[sgprSizeI]            // coord0 < size0
v_cmp_lt_u32 s[62:63], v1, s[sgprSizeJ]            // coord1 < size1
s_and_b64 s[62:63], s[58:59], s[62:63]             // in0 && in1
_v_add_lshl_u32 v62, v3, v4, 0x2                   // scaleToBpe: accumulate d0 lower and *= bpe into Cin addr
v_cndmask_b32 v62, -1, v62, s[62:63]               // LDD clip if OOB. offset
/* (d1,vc1,d0,vc0)=(1,1,4,0) */
s_mov_b32 s58, 128                                 // coordOffset0 d0=4 vc0=0
_v_add_co_u32 v4, vcc, v0, s58                     // coord0.2: coord0 += d0*sg0*VW + vc0
v_cmp_lt_u32 s[58:59], v4, s[sgprSizeI]            // coord0 < size0
v_cmp_lt_u32 s[62:63], v1, s[sgprSizeJ]            // coord1 < size1
s_and_b64 s[62:63], s[58:59], s[62:63]             // in0 && in1
_v_add_lshl_u32 v64, v3, v4, 0x2                   // scaleToBpe: accumulate d0 lower and *= bpe into Cin addr
v_cndmask_b32 v64, -1, v64, s[62:63]               // LDD clip if OOB. offset
/* (d1,vc1,d0,vc0)=(1,2,0,0) */
_v_add_co_u32 v1, vcc, v1, 1                       // coord1.1: coord1Vgpr += d1*sg1*VW + vc1

/* Fix for UseInitialStridesCD, emitAddressSetupCode */
_v_add_u32 v2, v2, s[sgprStrideC1J]                // ROWINC- Move cinRowPtr to next row
_v_add_u32 v3, v3, s[sgprStrideD1J]                // Move coutRowPtr to next row
	;; [unrolled: 41-line block ×3, first 2 shown]
v_cmp_lt_u32 s[58:59], v0, s[sgprSizeI]            // coord0 < size0
v_cmp_lt_u32 s[62:63], v1, s[sgprSizeJ]            // coord1 < size1
s_and_b64 s[62:63], s[58:59], s[62:63]             // in0 && in1
_v_add_lshl_u32 v76, v3, v0, 0x2                   // scaleToBpe: accumulate d0 lower and *= bpe into Cin addr
v_cndmask_b32 v76, -1, v76, s[62:63]               // LDD clip if OOB. offset
/* (d1,vc1,d0,vc0)=(1,3,1,0) */
_v_add_co_u32 v4, vcc, v0, 32                      // coord0.1: coord0 += d0*sg0*VW + vc0
v_cmp_lt_u32 s[58:59], v4, s[sgprSizeI]            // coord0 < size0
v_cmp_lt_u32 s[62:63], v1, s[sgprSizeJ]            // coord1 < size1
s_and_b64 s[62:63], s[58:59], s[62:63]             // in0 && in1
_v_add_lshl_u32 v84, v3, v4, 0x2                   // scaleToBpe: accumulate d0 lower and *= bpe into Cin addr
v_cndmask_b32 v84, -1, v84, s[62:63]               // LDD clip if OOB. offset
/* (d1,vc1,d0,vc0)=(1,3,2,0) */
_v_add_co_u32 v4, vcc, v0, 64                      // coord0.1: coord0 += d0*sg0*VW + vc0
v_cmp_lt_u32 s[58:59], v4, s[sgprSizeI]            // coord0 < size0
v_cmp_lt_u32 s[62:63], v1, s[sgprSizeJ]            // coord1 < size1
s_and_b64 s[62:63], s[58:59], s[62:63]             // in0 && in1
_v_add_lshl_u32 v86, v3, v4, 0x2                   // scaleToBpe: accumulate d0 lower and *= bpe into Cin addr
v_cndmask_b32 v86, -1, v86, s[62:63]               // LDD clip if OOB. offset
/* (d1,vc1,d0,vc0)=(1,3,3,0) */
s_mov_b32 s58, 96                                  // coordOffset0 d0=3 vc0=0
_v_add_co_u32 v4, vcc, v0, s58                     // coord0.2: coord0 += d0*sg0*VW + vc0
v_cmp_lt_u32 s[58:59], v4, s[sgprSizeI]            // coord0 < size0
v_cmp_lt_u32 s[62:63], v1, s[sgprSizeJ]            // coord1 < size1
s_and_b64 s[62:63], s[58:59], s[62:63]             // in0 && in1
_v_add_lshl_u32 v88, v3, v4, 0x2                   // scaleToBpe: accumulate d0 lower and *= bpe into Cin addr
v_cndmask_b32 v88, -1, v88, s[62:63]               // LDD clip if OOB. offset
/* (d1,vc1,d0,vc0)=(1,3,4,0) */
s_mov_b32 s58, 128                                 // coordOffset0 d0=4 vc0=0
_v_add_co_u32 v4, vcc, v0, s58                     // coord0.2: coord0 += d0*sg0*VW + vc0
v_cmp_lt_u32 s[58:59], v4, s[sgprSizeI]            // coord0 < size0
v_cmp_lt_u32 s[62:63], v1, s[sgprSizeJ]            // coord1 < size1
s_and_b64 s[62:63], s[58:59], s[62:63]             // in0 && in1
_v_add_lshl_u32 v90, v3, v4, 0x2                   // scaleToBpe: accumulate d0 lower and *= bpe into Cin addr
v_cndmask_b32 v90, -1, v90, s[62:63]               // LDD clip if OOB. offset
/* (d1,vc1,d0,vc0)=(2,0,0,0) */
_v_add_co_u32 v1, vcc, v1, 5                       // coord1.1: coord1Vgpr += d1*sg1*VW + vc1

/* Fix for UseInitialStridesCD, emitAddressSetupCode */
s_mul_i32 s58, s[sgprStrideC1J], 5                 // scale stride
_v_add_u32 v2, v2, s58                             // ROWINC- Move cinRowPtr to next row
s_mul_i32 s58, s[sgprStrideD1J], 5                 // scale stride
_v_add_u32 v3, v3, s58                             // Move coutRowPtr to next row
v_cmp_lt_u32 s[58:59], v0, s[sgprSizeI]            // coord0 < size0
v_cmp_lt_u32 s[62:63], v1, s[sgprSizeJ]            // coord1 < size1
s_and_b64 s[62:63], s[58:59], s[62:63]             // in0 && in1
_v_add_lshl_u32 v92, v3, v0, 0x2                   // scaleToBpe: accumulate d0 lower and *= bpe into Cin addr
v_cndmask_b32 v92, -1, v92, s[62:63]               // LDD clip if OOB. offset
/* (d1,vc1,d0,vc0)=(2,0,1,0) */
_v_add_co_u32 v4, vcc, v0, 32                      // coord0.1: coord0 += d0*sg0*VW + vc0
v_cmp_lt_u32 s[58:59], v4, s[sgprSizeI]            // coord0 < size0
v_cmp_lt_u32 s[62:63], v1, s[sgprSizeJ]            // coord1 < size1
s_and_b64 s[62:63], s[58:59], s[62:63]             // in0 && in1
_v_add_lshl_u32 v94, v3, v4, 0x2                   // scaleToBpe: accumulate d0 lower and *= bpe into Cin addr
v_cndmask_b32 v94, -1, v94, s[62:63]               // LDD clip if OOB. offset
/* (d1,vc1,d0,vc0)=(2,0,2,0) */
_v_add_co_u32 v4, vcc, v0, 64                      // coord0.1: coord0 += d0*sg0*VW + vc0
v_cmp_lt_u32 s[58:59], v4, s[sgprSizeI]            // coord0 < size0
v_cmp_lt_u32 s[62:63], v1, s[sgprSizeJ]            // coord1 < size1
s_and_b64 s[62:63], s[58:59], s[62:63]             // in0 && in1
_v_add_lshl_u32 v96, v3, v4, 0x2                   // scaleToBpe: accumulate d0 lower and *= bpe into Cin addr
v_cndmask_b32 v96, -1, v96, s[62:63]               // LDD clip if OOB. offset
/* (d1,vc1,d0,vc0)=(2,0,3,0) */
s_mov_b32 s58, 96                                  // coordOffset0 d0=3 vc0=0
_v_add_co_u32 v4, vcc, v0, s58                     // coord0.2: coord0 += d0*sg0*VW + vc0
v_cmp_lt_u32 s[58:59], v4, s[sgprSizeI]            // coord0 < size0
v_cmp_lt_u32 s[62:63], v1, s[sgprSizeJ]            // coord1 < size1
s_and_b64 s[62:63], s[58:59], s[62:63]             // in0 && in1
_v_add_lshl_u32 v98, v3, v4, 0x2                   // scaleToBpe: accumulate d0 lower and *= bpe into Cin addr
v_cndmask_b32 v98, -1, v98, s[62:63]               // LDD clip if OOB. offset
/* (d1,vc1,d0,vc0)=(2,0,4,0) */
s_mov_b32 s58, 128                                 // coordOffset0 d0=4 vc0=0
_v_add_co_u32 v4, vcc, v0, s58                     // coord0.2: coord0 += d0*sg0*VW + vc0
v_cmp_lt_u32 s[58:59], v4, s[sgprSizeI]            // coord0 < size0
v_cmp_lt_u32 s[62:63], v1, s[sgprSizeJ]            // coord1 < size1
s_and_b64 s[62:63], s[58:59], s[62:63]             // in0 && in1
_v_add_lshl_u32 v100, v3, v4, 0x2                  // scaleToBpe: accumulate d0 lower and *= bpe into Cin addr
v_cndmask_b32 v100, -1, v100, s[62:63]             // LDD clip if OOB. offset
/* (d1,vc1,d0,vc0)=(2,1,0,0) */
_v_add_co_u32 v1, vcc, v1, 1                       // coord1.1: coord1Vgpr += d1*sg1*VW + vc1

/* Fix for UseInitialStridesCD, emitAddressSetupCode */
_v_add_u32 v2, v2, s[sgprStrideC1J]                // ROWINC- Move cinRowPtr to next row
_v_add_u32 v3, v3, s[sgprStrideD1J]                // Move coutRowPtr to next row
v_cmp_lt_u32 s[58:59], v0, s[sgprSizeI]            // coord0 < size0
v_cmp_lt_u32 s[62:63], v1, s[sgprSizeJ]            // coord1 < size1
s_and_b64 s[62:63], s[58:59], s[62:63]             // in0 && in1
_v_add_lshl_u32 v102, v3, v0, 0x2                  // scaleToBpe: accumulate d0 lower and *= bpe into Cin addr
v_cndmask_b32 v102, -1, v102, s[62:63]             // LDD clip if OOB. offset
/* (d1,vc1,d0,vc0)=(2,1,1,0) */
_v_add_co_u32 v4, vcc, v0, 32                      // coord0.1: coord0 += d0*sg0*VW + vc0
v_cmp_lt_u32 s[58:59], v4, s[sgprSizeI]            // coord0 < size0
v_cmp_lt_u32 s[62:63], v1, s[sgprSizeJ]            // coord1 < size1
s_and_b64 s[62:63], s[58:59], s[62:63]             // in0 && in1
_v_add_lshl_u32 v104, v3, v4, 0x2                  // scaleToBpe: accumulate d0 lower and *= bpe into Cin addr
v_cndmask_b32 v104, -1, v104, s[62:63]             // LDD clip if OOB. offset
/* (d1,vc1,d0,vc0)=(2,1,2,0) */
_v_add_co_u32 v4, vcc, v0, 64                      // coord0.1: coord0 += d0*sg0*VW + vc0
v_cmp_lt_u32 s[58:59], v4, s[sgprSizeI]            // coord0 < size0
v_cmp_lt_u32 s[62:63], v1, s[sgprSizeJ]            // coord1 < size1
s_and_b64 s[62:63], s[58:59], s[62:63]             // in0 && in1
_v_add_lshl_u32 v106, v3, v4, 0x2                  // scaleToBpe: accumulate d0 lower and *= bpe into Cin addr
v_cndmask_b32 v106, -1, v106, s[62:63]             // LDD clip if OOB. offset
/* (d1,vc1,d0,vc0)=(2,1,3,0) */
s_mov_b32 s58, 96                                  // coordOffset0 d0=3 vc0=0
_v_add_co_u32 v4, vcc, v0, s58                     // coord0.2: coord0 += d0*sg0*VW + vc0
v_cmp_lt_u32 s[58:59], v4, s[sgprSizeI]            // coord0 < size0
v_cmp_lt_u32 s[62:63], v1, s[sgprSizeJ]            // coord1 < size1
s_and_b64 s[62:63], s[58:59], s[62:63]             // in0 && in1
_v_add_lshl_u32 v108, v3, v4, 0x2                  // scaleToBpe: accumulate d0 lower and *= bpe into Cin addr
v_cndmask_b32 v108, -1, v108, s[62:63]             // LDD clip if OOB. offset
/* (d1,vc1,d0,vc0)=(2,1,4,0) */
s_mov_b32 s58, 128                                 // coordOffset0 d0=4 vc0=0
_v_add_co_u32 v4, vcc, v0, s58                     // coord0.2: coord0 += d0*sg0*VW + vc0
v_cmp_lt_u32 s[58:59], v4, s[sgprSizeI]            // coord0 < size0
v_cmp_lt_u32 s[62:63], v1, s[sgprSizeJ]            // coord1 < size1
s_and_b64 s[62:63], s[58:59], s[62:63]             // in0 && in1
_v_add_lshl_u32 v110, v3, v4, 0x2                  // scaleToBpe: accumulate d0 lower and *= bpe into Cin addr
v_cndmask_b32 v110, -1, v110, s[62:63]             // LDD clip if OOB. offset
/* (d1,vc1,d0,vc0)=(2,2,0,0) */
_v_add_co_u32 v1, vcc, v1, 1                       // coord1.1: coord1Vgpr += d1*sg1*VW + vc1

/* Fix for UseInitialStridesCD, emitAddressSetupCode */
_v_add_u32 v2, v2, s[sgprStrideC1J]                // ROWINC- Move cinRowPtr to next row
_v_add_u32 v3, v3, s[sgprStrideD1J]                // Move coutRowPtr to next row
v_cmp_lt_u32 s[58:59], v0, s[sgprSizeI]            // coord0 < size0
v_cmp_lt_u32 s[62:63], v1, s[sgprSizeJ]            // coord1 < size1
s_and_b64 s[62:63], s[58:59], s[62:63]             // in0 && in1
_v_add_lshl_u32 v112, v3, v0, 0x2                  // scaleToBpe: accumulate d0 lower and *= bpe into Cin addr
v_cndmask_b32 v112, -1, v112, s[62:63]             // LDD clip if OOB. offset
/* (d1,vc1,d0,vc0)=(2,2,1,0) */
_v_add_co_u32 v4, vcc, v0, 32                      // coord0.1: coord0 += d0*sg0*VW + vc0
v_cmp_lt_u32 s[58:59], v4, s[sgprSizeI]            // coord0 < size0
v_cmp_lt_u32 s[62:63], v1, s[sgprSizeJ]            // coord1 < size1
s_and_b64 s[62:63], s[58:59], s[62:63]             // in0 && in1
_v_add_lshl_u32 v114, v3, v4, 0x2                  // scaleToBpe: accumulate d0 lower and *= bpe into Cin addr
v_cndmask_b32 v114, -1, v114, s[62:63]             // LDD clip if OOB. offset
/* (d1,vc1,d0,vc0)=(2,2,2,0) */
_v_add_co_u32 v4, vcc, v0, 64                      // coord0.1: coord0 += d0*sg0*VW + vc0
v_cmp_lt_u32 s[58:59], v4, s[sgprSizeI]            // coord0 < size0
v_cmp_lt_u32 s[62:63], v1, s[sgprSizeJ]            // coord1 < size1
s_and_b64 s[62:63], s[58:59], s[62:63]             // in0 && in1
_v_add_lshl_u32 v116, v3, v4, 0x2                  // scaleToBpe: accumulate d0 lower and *= bpe into Cin addr
v_cndmask_b32 v116, -1, v116, s[62:63]             // LDD clip if OOB. offset
/* (d1,vc1,d0,vc0)=(2,2,3,0) */
s_mov_b32 s58, 96                                  // coordOffset0 d0=3 vc0=0
_v_add_co_u32 v4, vcc, v0, s58                     // coord0.2: coord0 += d0*sg0*VW + vc0
v_cmp_lt_u32 s[58:59], v4, s[sgprSizeI]            // coord0 < size0
v_cmp_lt_u32 s[62:63], v1, s[sgprSizeJ]            // coord1 < size1
s_and_b64 s[62:63], s[58:59], s[62:63]             // in0 && in1
_v_add_lshl_u32 v118, v3, v4, 0x2                  // scaleToBpe: accumulate d0 lower and *= bpe into Cin addr
v_cndmask_b32 v118, -1, v118, s[62:63]             // LDD clip if OOB. offset
	;; [unrolled: 41-line block ×3, first 2 shown]
/* (d1,vc1,d0,vc0)=(2,3,4,0) */
s_mov_b32 s58, 128                                 // coordOffset0 d0=4 vc0=0
_v_add_co_u32 v4, vcc, v0, s58                     // coord0.2: coord0 += d0*sg0*VW + vc0
v_cmp_lt_u32 s[58:59], v4, s[sgprSizeI]            // coord0 < size0
v_cmp_lt_u32 s[62:63], v1, s[sgprSizeJ]            // coord1 < size1
s_and_b64 s[62:63], s[58:59], s[62:63]             // in0 && in1
_v_add_lshl_u32 v130, v3, v4, 0x2                  // scaleToBpe: accumulate d0 lower and *= bpe into Cin addr
v_cndmask_b32 v130, -1, v130, s[62:63]             // LDD clip if OOB. offset
/* (d1,vc1,d0,vc0)=(3,0,0,0) */
_v_add_co_u32 v1, vcc, v1, 5                       // coord1.1: coord1Vgpr += d1*sg1*VW + vc1

/* Fix for UseInitialStridesCD, emitAddressSetupCode */
s_mul_i32 s58, s[sgprStrideC1J], 5                 // scale stride
_v_add_u32 v2, v2, s58                             // ROWINC- Move cinRowPtr to next row
s_mul_i32 s58, s[sgprStrideD1J], 5                 // scale stride
_v_add_u32 v3, v3, s58                             // Move coutRowPtr to next row
v_cmp_lt_u32 s[58:59], v0, s[sgprSizeI]            // coord0 < size0
v_cmp_lt_u32 s[62:63], v1, s[sgprSizeJ]            // coord1 < size1
s_and_b64 s[62:63], s[58:59], s[62:63]             // in0 && in1
_v_add_lshl_u32 v132, v3, v0, 0x2                  // scaleToBpe: accumulate d0 lower and *= bpe into Cin addr
v_cndmask_b32 v132, -1, v132, s[62:63]             // LDD clip if OOB. offset
/* (d1,vc1,d0,vc0)=(3,0,1,0) */
_v_add_co_u32 v4, vcc, v0, 32                      // coord0.1: coord0 += d0*sg0*VW + vc0
v_cmp_lt_u32 s[58:59], v4, s[sgprSizeI]            // coord0 < size0
v_cmp_lt_u32 s[62:63], v1, s[sgprSizeJ]            // coord1 < size1
s_and_b64 s[62:63], s[58:59], s[62:63]             // in0 && in1
_v_add_lshl_u32 v134, v3, v4, 0x2                  // scaleToBpe: accumulate d0 lower and *= bpe into Cin addr
v_cndmask_b32 v134, -1, v134, s[62:63]             // LDD clip if OOB. offset
/* (d1,vc1,d0,vc0)=(3,0,2,0) */
_v_add_co_u32 v4, vcc, v0, 64                      // coord0.1: coord0 += d0*sg0*VW + vc0
v_cmp_lt_u32 s[58:59], v4, s[sgprSizeI]            // coord0 < size0
v_cmp_lt_u32 s[62:63], v1, s[sgprSizeJ]            // coord1 < size1
s_and_b64 s[62:63], s[58:59], s[62:63]             // in0 && in1
_v_add_lshl_u32 v136, v3, v4, 0x2                  // scaleToBpe: accumulate d0 lower and *= bpe into Cin addr
v_cndmask_b32 v136, -1, v136, s[62:63]             // LDD clip if OOB. offset
/* (d1,vc1,d0,vc0)=(3,0,3,0) */
s_mov_b32 s58, 96                                  // coordOffset0 d0=3 vc0=0
_v_add_co_u32 v4, vcc, v0, s58                     // coord0.2: coord0 += d0*sg0*VW + vc0
v_cmp_lt_u32 s[58:59], v4, s[sgprSizeI]            // coord0 < size0
v_cmp_lt_u32 s[62:63], v1, s[sgprSizeJ]            // coord1 < size1
s_and_b64 s[62:63], s[58:59], s[62:63]             // in0 && in1
_v_add_lshl_u32 v138, v3, v4, 0x2                  // scaleToBpe: accumulate d0 lower and *= bpe into Cin addr
v_cndmask_b32 v138, -1, v138, s[62:63]             // LDD clip if OOB. offset
/* (d1,vc1,d0,vc0)=(3,0,4,0) */
s_mov_b32 s58, 128                                 // coordOffset0 d0=4 vc0=0
_v_add_co_u32 v4, vcc, v0, s58                     // coord0.2: coord0 += d0*sg0*VW + vc0
v_cmp_lt_u32 s[58:59], v4, s[sgprSizeI]            // coord0 < size0
v_cmp_lt_u32 s[62:63], v1, s[sgprSizeJ]            // coord1 < size1
s_and_b64 s[62:63], s[58:59], s[62:63]             // in0 && in1
_v_add_lshl_u32 v140, v3, v4, 0x2                  // scaleToBpe: accumulate d0 lower and *= bpe into Cin addr
v_cndmask_b32 v140, -1, v140, s[62:63]             // LDD clip if OOB. offset
/* (d1,vc1,d0,vc0)=(3,1,0,0) */
_v_add_co_u32 v1, vcc, v1, 1                       // coord1.1: coord1Vgpr += d1*sg1*VW + vc1

/* Fix for UseInitialStridesCD, emitAddressSetupCode */
_v_add_u32 v2, v2, s[sgprStrideC1J]                // ROWINC- Move cinRowPtr to next row
_v_add_u32 v3, v3, s[sgprStrideD1J]                // Move coutRowPtr to next row
v_cmp_lt_u32 s[58:59], v0, s[sgprSizeI]            // coord0 < size0
v_cmp_lt_u32 s[62:63], v1, s[sgprSizeJ]            // coord1 < size1
s_and_b64 s[62:63], s[58:59], s[62:63]             // in0 && in1
_v_add_lshl_u32 v142, v3, v0, 0x2                  // scaleToBpe: accumulate d0 lower and *= bpe into Cin addr
v_cndmask_b32 v142, -1, v142, s[62:63]             // LDD clip if OOB. offset
/* (d1,vc1,d0,vc0)=(3,1,1,0) */
_v_add_co_u32 v4, vcc, v0, 32                      // coord0.1: coord0 += d0*sg0*VW + vc0
v_cmp_lt_u32 s[58:59], v4, s[sgprSizeI]            // coord0 < size0
v_cmp_lt_u32 s[62:63], v1, s[sgprSizeJ]            // coord1 < size1
s_and_b64 s[62:63], s[58:59], s[62:63]             // in0 && in1
_v_add_lshl_u32 v144, v3, v4, 0x2                  // scaleToBpe: accumulate d0 lower and *= bpe into Cin addr
v_cndmask_b32 v144, -1, v144, s[62:63]             // LDD clip if OOB. offset
/* (d1,vc1,d0,vc0)=(3,1,2,0) */
_v_add_co_u32 v4, vcc, v0, 64                      // coord0.1: coord0 += d0*sg0*VW + vc0
v_cmp_lt_u32 s[58:59], v4, s[sgprSizeI]            // coord0 < size0
v_cmp_lt_u32 s[62:63], v1, s[sgprSizeJ]            // coord1 < size1
s_and_b64 s[62:63], s[58:59], s[62:63]             // in0 && in1
_v_add_lshl_u32 v146, v3, v4, 0x2                  // scaleToBpe: accumulate d0 lower and *= bpe into Cin addr
v_cndmask_b32 v146, -1, v146, s[62:63]             // LDD clip if OOB. offset
/* (d1,vc1,d0,vc0)=(3,1,3,0) */
s_mov_b32 s58, 96                                  // coordOffset0 d0=3 vc0=0
_v_add_co_u32 v4, vcc, v0, s58                     // coord0.2: coord0 += d0*sg0*VW + vc0
v_cmp_lt_u32 s[58:59], v4, s[sgprSizeI]            // coord0 < size0
v_cmp_lt_u32 s[62:63], v1, s[sgprSizeJ]            // coord1 < size1
s_and_b64 s[62:63], s[58:59], s[62:63]             // in0 && in1
_v_add_lshl_u32 v148, v3, v4, 0x2                  // scaleToBpe: accumulate d0 lower and *= bpe into Cin addr
v_cndmask_b32 v148, -1, v148, s[62:63]             // LDD clip if OOB. offset
/* (d1,vc1,d0,vc0)=(3,1,4,0) */
s_mov_b32 s58, 128                                 // coordOffset0 d0=4 vc0=0
_v_add_co_u32 v4, vcc, v0, s58                     // coord0.2: coord0 += d0*sg0*VW + vc0
v_cmp_lt_u32 s[58:59], v4, s[sgprSizeI]            // coord0 < size0
v_cmp_lt_u32 s[62:63], v1, s[sgprSizeJ]            // coord1 < size1
s_and_b64 s[62:63], s[58:59], s[62:63]             // in0 && in1
_v_add_lshl_u32 v150, v3, v4, 0x2                  // scaleToBpe: accumulate d0 lower and *= bpe into Cin addr
v_cndmask_b32 v150, -1, v150, s[62:63]             // LDD clip if OOB. offset
/* (d1,vc1,d0,vc0)=(3,2,0,0) */
_v_add_co_u32 v1, vcc, v1, 1                       // coord1.1: coord1Vgpr += d1*sg1*VW + vc1

/* Fix for UseInitialStridesCD, emitAddressSetupCode */
_v_add_u32 v2, v2, s[sgprStrideC1J]                // ROWINC- Move cinRowPtr to next row
_v_add_u32 v3, v3, s[sgprStrideD1J]                // Move coutRowPtr to next row
	;; [unrolled: 41-line block ×3, first 2 shown]
v_cmp_lt_u32 s[58:59], v0, s[sgprSizeI]            // coord0 < size0
v_cmp_lt_u32 s[62:63], v1, s[sgprSizeJ]            // coord1 < size1
s_and_b64 s[62:63], s[58:59], s[62:63]             // in0 && in1
_v_add_lshl_u32 v162, v3, v0, 0x2                  // scaleToBpe: accumulate d0 lower and *= bpe into Cin addr
v_cndmask_b32 v162, -1, v162, s[62:63]             // LDD clip if OOB. offset
/* (d1,vc1,d0,vc0)=(3,3,1,0) */
_v_add_co_u32 v4, vcc, v0, 32                      // coord0.1: coord0 += d0*sg0*VW + vc0
v_cmp_lt_u32 s[58:59], v4, s[sgprSizeI]            // coord0 < size0
v_cmp_lt_u32 s[62:63], v1, s[sgprSizeJ]            // coord1 < size1
s_and_b64 s[62:63], s[58:59], s[62:63]             // in0 && in1
_v_add_lshl_u32 v164, v3, v4, 0x2                  // scaleToBpe: accumulate d0 lower and *= bpe into Cin addr
v_cndmask_b32 v164, -1, v164, s[62:63]             // LDD clip if OOB. offset
/* (d1,vc1,d0,vc0)=(3,3,2,0) */
_v_add_co_u32 v4, vcc, v0, 64                      // coord0.1: coord0 += d0*sg0*VW + vc0
v_cmp_lt_u32 s[58:59], v4, s[sgprSizeI]            // coord0 < size0
v_cmp_lt_u32 s[62:63], v1, s[sgprSizeJ]            // coord1 < size1
s_and_b64 s[62:63], s[58:59], s[62:63]             // in0 && in1
_v_add_lshl_u32 v166, v3, v4, 0x2                  // scaleToBpe: accumulate d0 lower and *= bpe into Cin addr
v_cndmask_b32 v166, -1, v166, s[62:63]             // LDD clip if OOB. offset
/* (d1,vc1,d0,vc0)=(3,3,3,0) */
s_mov_b32 s58, 96                                  // coordOffset0 d0=3 vc0=0
_v_add_co_u32 v4, vcc, v0, s58                     // coord0.2: coord0 += d0*sg0*VW + vc0
v_cmp_lt_u32 s[58:59], v4, s[sgprSizeI]            // coord0 < size0
v_cmp_lt_u32 s[62:63], v1, s[sgprSizeJ]            // coord1 < size1
s_and_b64 s[62:63], s[58:59], s[62:63]             // in0 && in1
_v_add_lshl_u32 v168, v3, v4, 0x2                  // scaleToBpe: accumulate d0 lower and *= bpe into Cin addr
v_cndmask_b32 v168, -1, v168, s[62:63]             // LDD clip if OOB. offset
/* (d1,vc1,d0,vc0)=(3,3,4,0) */
s_mov_b32 s58, 128                                 // coordOffset0 d0=4 vc0=0
_v_add_co_u32 v4, vcc, v0, s58                     // coord0.2: coord0 += d0*sg0*VW + vc0
v_cmp_lt_u32 s[58:59], v4, s[sgprSizeI]            // coord0 < size0
v_cmp_lt_u32 s[62:63], v1, s[sgprSizeJ]            // coord1 < size1
s_and_b64 s[62:63], s[58:59], s[62:63]             // in0 && in1
_v_add_lshl_u32 v170, v3, v4, 0x2                  // scaleToBpe: accumulate d0 lower and *= bpe into Cin addr
v_cndmask_b32 v170, -1, v170, s[62:63]             // LDD clip if OOB. offset
v_accvgpr_read_b32 v[vgprValuC+7], acc0 // copy acc to vreg[0]
v_accvgpr_read_b32 v[vgprValuC+9], acc16 // copy acc to vreg[1]
v_accvgpr_read_b32 v[vgprValuC+11], acc32 // copy acc to vreg[2]
v_accvgpr_read_b32 v[vgprValuC+13], acc48 // copy acc to vreg[3]
v_accvgpr_read_b32 v[vgprValuC+15], acc64 // copy acc to vreg[4]
v_accvgpr_read_b32 v[vgprValuC+17], acc1 // copy acc to vreg[5]
v_accvgpr_read_b32 v[vgprValuC+19], acc17 // copy acc to vreg[6]
v_accvgpr_read_b32 v[vgprValuC+21], acc33 // copy acc to vreg[7]
v_accvgpr_read_b32 v[vgprValuC+23], acc49 // copy acc to vreg[8]
v_accvgpr_read_b32 v[vgprValuC+25], acc65 // copy acc to vreg[9]
v_accvgpr_read_b32 v[vgprValuC+27], acc2 // copy acc to vreg[10]
v_accvgpr_read_b32 v[vgprValuC+29], acc18 // copy acc to vreg[11]
v_accvgpr_read_b32 v[vgprValuC+31], acc34 // copy acc to vreg[12]
v_accvgpr_read_b32 v[vgprValuC+33], acc50 // copy acc to vreg[13]
v_accvgpr_read_b32 v[vgprValuC+35], acc66 // copy acc to vreg[14]
v_accvgpr_read_b32 v[vgprValuC+37], acc3 // copy acc to vreg[15]
v_accvgpr_read_b32 v[vgprValuC+39], acc19 // copy acc to vreg[16]
v_accvgpr_read_b32 v[vgprValuC+41], acc35 // copy acc to vreg[17]
v_accvgpr_read_b32 v[vgprValuC+43], acc51 // copy acc to vreg[18]
v_accvgpr_read_b32 v[vgprValuC+45], acc67 // copy acc to vreg[19]
v_accvgpr_read_b32 v[vgprValuC+47], acc4 // copy acc to vreg[20]
v_accvgpr_read_b32 v[vgprValuC+49], acc20 // copy acc to vreg[21]
v_accvgpr_read_b32 v[vgprValuC+51], acc36 // copy acc to vreg[22]
v_accvgpr_read_b32 v[vgprValuC+53], acc52 // copy acc to vreg[23]
v_accvgpr_read_b32 v[vgprValuC+55], acc68 // copy acc to vreg[24]
v_accvgpr_read_b32 v[vgprValuC+57], acc5 // copy acc to vreg[25]
v_accvgpr_read_b32 v[vgprValuC+59], acc21 // copy acc to vreg[26]
v_accvgpr_read_b32 v[vgprValuC+61], acc37 // copy acc to vreg[27]
v_accvgpr_read_b32 v[vgprValuC+63], acc53 // copy acc to vreg[28]
v_accvgpr_read_b32 v[vgprValuC+65], acc69 // copy acc to vreg[29]
v_accvgpr_read_b32 v[vgprValuC+67], acc6 // copy acc to vreg[30]
v_accvgpr_read_b32 v[vgprValuC+69], acc22 // copy acc to vreg[31]
v_accvgpr_read_b32 v[vgprValuC+71], acc38 // copy acc to vreg[32]
v_accvgpr_read_b32 v[vgprValuC+73], acc54 // copy acc to vreg[33]
v_accvgpr_read_b32 v[vgprValuC+75], acc70 // copy acc to vreg[34]
v_accvgpr_read_b32 v[vgprValuC+77], acc7 // copy acc to vreg[35]
v_accvgpr_read_b32 v[vgprValuC+85], acc23 // copy acc to vreg[36]
v_accvgpr_read_b32 v[vgprValuC+87], acc39 // copy acc to vreg[37]
v_accvgpr_read_b32 v[vgprValuC+89], acc55 // copy acc to vreg[38]
v_accvgpr_read_b32 v[vgprValuC+91], acc71 // copy acc to vreg[39]
v_accvgpr_read_b32 v[vgprValuC+93], acc8 // copy acc to vreg[40]
v_accvgpr_read_b32 v[vgprValuC+95], acc24 // copy acc to vreg[41]
v_accvgpr_read_b32 v[vgprValuC+97], acc40 // copy acc to vreg[42]
v_accvgpr_read_b32 v[vgprValuC+99], acc56 // copy acc to vreg[43]
v_accvgpr_read_b32 v[vgprValuC+101], acc72 // copy acc to vreg[44]
v_accvgpr_read_b32 v[vgprValuC+103], acc9 // copy acc to vreg[45]
v_accvgpr_read_b32 v[vgprValuC+105], acc25 // copy acc to vreg[46]
v_accvgpr_read_b32 v[vgprValuC+107], acc41 // copy acc to vreg[47]
v_accvgpr_read_b32 v[vgprValuC+109], acc57 // copy acc to vreg[48]
v_accvgpr_read_b32 v[vgprValuC+111], acc73 // copy acc to vreg[49]
v_accvgpr_read_b32 v[vgprValuC+113], acc10 // copy acc to vreg[50]
v_accvgpr_read_b32 v[vgprValuC+115], acc26 // copy acc to vreg[51]
v_accvgpr_read_b32 v[vgprValuC+117], acc42 // copy acc to vreg[52]
v_accvgpr_read_b32 v[vgprValuC+119], acc58 // copy acc to vreg[53]
v_accvgpr_read_b32 v[vgprValuC+121], acc74 // copy acc to vreg[54]
v_accvgpr_read_b32 v[vgprValuC+123], acc11 // copy acc to vreg[55]
v_accvgpr_read_b32 v[vgprValuC+125], acc27 // copy acc to vreg[56]
v_accvgpr_read_b32 v[vgprValuC+127], acc43 // copy acc to vreg[57]
v_accvgpr_read_b32 v[vgprValuC+129], acc59 // copy acc to vreg[58]
v_accvgpr_read_b32 v[vgprValuC+131], acc75 // copy acc to vreg[59]
v_accvgpr_read_b32 v[vgprValuC+133], acc12 // copy acc to vreg[60]
v_accvgpr_read_b32 v[vgprValuC+135], acc28 // copy acc to vreg[61]
v_accvgpr_read_b32 v[vgprValuC+137], acc44 // copy acc to vreg[62]
v_accvgpr_read_b32 v[vgprValuC+139], acc60 // copy acc to vreg[63]
v_accvgpr_read_b32 v[vgprValuC+141], acc76 // copy acc to vreg[64]
v_accvgpr_read_b32 v[vgprValuC+143], acc13 // copy acc to vreg[65]
v_accvgpr_read_b32 v[vgprValuC+145], acc29 // copy acc to vreg[66]
v_accvgpr_read_b32 v[vgprValuC+147], acc45 // copy acc to vreg[67]
v_accvgpr_read_b32 v[vgprValuC+149], acc61 // copy acc to vreg[68]
v_accvgpr_read_b32 v[vgprValuC+151], acc77 // copy acc to vreg[69]
v_accvgpr_read_b32 v[vgprValuC+153], acc14 // copy acc to vreg[70]
v_accvgpr_read_b32 v[vgprValuC+155], acc30 // copy acc to vreg[71]
v_accvgpr_read_b32 v[vgprValuC+157], acc46 // copy acc to vreg[72]
v_accvgpr_read_b32 v[vgprValuC+159], acc62 // copy acc to vreg[73]
v_accvgpr_read_b32 v[vgprValuC+161], acc78 // copy acc to vreg[74]
v_accvgpr_read_b32 v[vgprValuC+163], acc15 // copy acc to vreg[75]
v_accvgpr_read_b32 v[vgprValuC+165], acc31 // copy acc to vreg[76]
v_accvgpr_read_b32 v[vgprValuC+167], acc47 // copy acc to vreg[77]
v_accvgpr_read_b32 v[vgprValuC+169], acc63 // copy acc to vreg[78]
v_accvgpr_read_b32 v[vgprValuC+171], acc79 // copy acc to vreg[79]
s_nop 1                                            // 2 wait states required before reading vgpr

/* rC *= alpha batchElements=[(0, 0, 0, 0), (0, 1, 0, 0), (0, 2, 0, 0), (0, 3, 0, 0), (0, 4, 0, 0), (0, 0, 1, 0), (0, 1, 1, 0), (0, 2, 1, 0), (0, 3, 1, 0), (0, 4, 1, 0), (0, 0, 2, 0), (0, 1, 2, 0), (0, 2, 2, 0), (0, 3, 2, 0), (0, 4, 2, 0), (0, 0, 3, 0), (0, 1, 3, 0), (0, 2, 3, 0), (0, 3, 3, 0), (0, 4, 3, 0), (1, 0, 0, 0), (1, 1, 0, 0), (1, 2, 0, 0), (1, 3, 0, 0), (1, 4, 0, 0), (1, 0, 1, 0), (1, 1, 1, 0), (1, 2, 1, 0), (1, 3, 1, 0), (1, 4, 1, 0), (1, 0, 2, 0), (1, 1, 2, 0), (1, 2, 2, 0), (1, 3, 2, 0), (1, 4, 2, 0), (1, 0, 3, 0), (1, 1, 3, 0), (1, 2, 3, 0), (1, 3, 3, 0), (1, 4, 3, 0), (2, 0, 0, 0), (2, 1, 0, 0), (2, 2, 0, 0), (2, 3, 0, 0), (2, 4, 0, 0), (2, 0, 1, 0), (2, 1, 1, 0), (2, 2, 1, 0), (2, 3, 1, 0), (2, 4, 1, 0), (2, 0, 2, 0), (2, 1, 2, 0), (2, 2, 2, 0), (2, 3, 2, 0), (2, 4, 2, 0), (2, 0, 3, 0), (2, 1, 3, 0), (2, 2, 3, 0), (2, 3, 3, 0), (2, 4, 3, 0), (3, 0, 0, 0), (3, 1, 0, 0), (3, 2, 0, 0), (3, 3, 0, 0), (3, 4, 0, 0), (3, 0, 1, 0), (3, 1, 1, 0), (3, 2, 1, 0), (3, 3, 1, 0), (3, 4, 1, 0), (3, 0, 2, 0), (3, 1, 2, 0), (3, 2, 2, 0), (3, 3, 2, 0), (3, 4, 2, 0), (3, 0, 3, 0), (3, 1, 3, 0), (3, 2, 3, 0), (3, 3, 3, 0), (3, 4, 3, 0)] */

/* apply mask, calc new C and issue writes */
_buffer_store_b32 v7, v6, s[sgprSrdD:sgprSrdD+3], 0, offen, offset:0 // store D
_buffer_store_b32 v9, v8, s[sgprSrdD:sgprSrdD+3], 0, offen, offset:0 // store D
	;; [unrolled: 1-line block ×80, first 2 shown]
s_nop 0                                            // 1 wait state required when next inst writes vgprs held by previous dwordx4 store inst
s_branch label_GW_End_70                           // jump to end
label_GW_End_70:

label_0075:  /// KernelEnd
s_endpgm                                           // Kernel End

